;; amdgpu-corpus repo=ROCm/rocFFT kind=compiled arch=gfx1030 opt=O3
	.text
	.amdgcn_target "amdgcn-amd-amdhsa--gfx1030"
	.amdhsa_code_object_version 6
	.protected	bluestein_single_fwd_len3240_dim1_half_op_CI_CI ; -- Begin function bluestein_single_fwd_len3240_dim1_half_op_CI_CI
	.globl	bluestein_single_fwd_len3240_dim1_half_op_CI_CI
	.p2align	8
	.type	bluestein_single_fwd_len3240_dim1_half_op_CI_CI,@function
bluestein_single_fwd_len3240_dim1_half_op_CI_CI: ; @bluestein_single_fwd_len3240_dim1_half_op_CI_CI
; %bb.0:
	s_load_dwordx4 s[16:19], s[4:5], 0x28
	v_mul_u32_u24_e32 v1, 0x25f, v0
	s_mov_b64 s[22:23], s[2:3]
	s_mov_b64 s[20:21], s[0:1]
	v_mov_b32_e32 v3, 0
	s_add_u32 s20, s20, s7
	v_lshrrev_b32_e32 v1, 16, v1
	s_addc_u32 s21, s21, 0
	s_mov_b32 s0, exec_lo
	v_add_nc_u32_e32 v2, s6, v1
	s_waitcnt lgkmcnt(0)
	v_cmpx_gt_u64_e64 s[16:17], v[2:3]
	s_cbranch_execz .LBB0_2
; %bb.1:
	s_clause 0x1
	s_load_dwordx4 s[8:11], s[4:5], 0x18
	s_load_dwordx4 s[0:3], s[4:5], 0x0
	v_mul_lo_u16 v1, 0x6c, v1
	v_mov_b32_e32 v250, 0x5a
	v_sub_nc_u16 v24, v0, v1
	v_and_b32_e32 v125, 0xffff, v24
	v_lshlrev_b32_e32 v130, 2, v125
	s_waitcnt lgkmcnt(0)
	s_load_dwordx4 s[12:15], s[8:9], 0x0
	v_add_co_u32 v133, s6, s0, v130
	v_add_co_ci_u32_e64 v134, null, s1, 0, s6
	global_load_dword v126, v130, s[0:1]
	v_add_nc_u32_e32 v141, 0x1200, v130
	v_add_nc_u32_e32 v140, 0x2200, v130
	;; [unrolled: 1-line block ×13, first 2 shown]
	s_waitcnt lgkmcnt(0)
	v_mad_u64_u32 v[4:5], null, s14, v2, 0
	v_mad_u64_u32 v[6:7], null, s12, v125, 0
	s_mul_i32 s7, s13, 0x10e0
	s_mul_hi_u32 s8, s12, 0x10e0
	s_mul_i32 s6, s12, 0x10e0
	s_add_i32 s7, s8, s7
	v_mov_b32_e32 v0, v5
	s_mul_i32 s9, s13, 0xffffdff0
	v_mov_b32_e32 v1, v7
	s_mul_i32 s8, s12, 0xffffdff0
	v_add_nc_u32_e32 v122, 0x2400, v130
	v_add_nc_u32_e32 v111, 0x1600, v130
	v_add_nc_u32_e32 v91, 0x1a00, v130
	v_mad_u64_u32 v[7:8], null, s15, v2, v[0:1]
	v_mad_u64_u32 v[8:9], null, s13, v125, v[1:2]
	buffer_store_dword v2, off, s[20:23], 0 offset:16 ; 4-byte Folded Spill
	buffer_store_dword v3, off, s[20:23], 0 offset:20 ; 4-byte Folded Spill
	v_add_co_u32 v2, vcc_lo, 0x1000, v133
	v_add_co_ci_u32_e32 v3, vcc_lo, 0, v134, vcc_lo
	v_mov_b32_e32 v5, v7
	v_mov_b32_e32 v7, v8
	v_add_co_u32 v0, vcc_lo, 0x2000, v133
	v_add_co_ci_u32_e32 v1, vcc_lo, 0, v134, vcc_lo
	v_lshlrev_b64 v[4:5], 2, v[4:5]
	v_lshlrev_b64 v[6:7], 2, v[6:7]
	global_load_dword v128, v[2:3], off offset:224
	s_mul_hi_u32 s13, s12, 0xffffdff0
	v_add_nc_u32_e32 v93, 0x2a00, v130
	s_sub_i32 s12, s13, s12
	v_add_co_u32 v4, vcc_lo, s18, v4
	v_add_co_ci_u32_e32 v5, vcc_lo, s19, v5, vcc_lo
	s_add_i32 s9, s12, s9
	v_add_co_u32 v4, vcc_lo, v4, v6
	v_add_co_ci_u32_e32 v5, vcc_lo, v5, v7, vcc_lo
	v_add_nc_u32_e32 v97, 0x1e00, v130
	v_add_co_u32 v8, vcc_lo, v4, s6
	v_add_co_ci_u32_e32 v9, vcc_lo, s7, v5, vcc_lo
	s_clause 0x1
	global_load_dword v7, v[4:5], off
	global_load_dword v6, v[8:9], off
	v_add_co_u32 v4, vcc_lo, v8, s6
	v_add_co_ci_u32_e32 v5, vcc_lo, s7, v9, vcc_lo
	v_add_nc_u32_e32 v103, 0x2e00, v130
	v_add_co_u32 v8, vcc_lo, v4, s8
	v_add_co_ci_u32_e32 v9, vcc_lo, s9, v5, vcc_lo
	global_load_dword v5, v[4:5], off
	s_clause 0x1
	global_load_dword v127, v130, s[0:1] offset:432
	global_load_dword v129, v[0:1], off offset:448
	global_load_dword v4, v[8:9], off
	v_add_co_u32 v8, vcc_lo, v8, s6
	v_add_co_ci_u32_e32 v9, vcc_lo, s7, v9, vcc_lo
	global_load_dword v123, v[2:3], off offset:656
	global_load_dword v13, v[8:9], off
	v_add_co_u32 v8, vcc_lo, v8, s6
	v_add_co_ci_u32_e32 v9, vcc_lo, s7, v9, vcc_lo
	global_load_dword v120, v[0:1], off offset:880
	v_add_co_u32 v10, vcc_lo, v8, s8
	v_add_co_ci_u32_e32 v11, vcc_lo, s9, v9, vcc_lo
	global_load_dword v12, v[8:9], off
	v_add_co_u32 v14, vcc_lo, v10, s6
	v_add_co_ci_u32_e32 v15, vcc_lo, s7, v11, vcc_lo
	global_load_dword v119, v130, s[0:1] offset:864
	global_load_dword v9, v[10:11], off
	global_load_dword v11, v[14:15], off
	v_add_co_u32 v14, vcc_lo, v14, s6
	v_add_co_ci_u32_e32 v15, vcc_lo, s7, v15, vcc_lo
	s_clause 0x1
	global_load_dword v118, v[2:3], off offset:1088
	global_load_dword v117, v[0:1], off offset:1312
	global_load_dword v10, v[14:15], off
	v_add_co_u32 v14, vcc_lo, v14, s8
	v_add_co_ci_u32_e32 v15, vcc_lo, s9, v15, vcc_lo
	s_clause 0x2
	global_load_dword v114, v130, s[0:1] offset:1296
	global_load_dword v108, v130, s[0:1] offset:1728
	global_load_dword v112, v[2:3], off offset:1520
	global_load_dword v8, v[14:15], off
	v_add_co_u32 v14, vcc_lo, v14, s6
	v_add_co_ci_u32_e32 v15, vcc_lo, s7, v15, vcc_lo
	global_load_dword v113, v[0:1], off offset:1744
	v_add_co_u32 v16, vcc_lo, v14, s6
	v_add_co_ci_u32_e32 v17, vcc_lo, s7, v15, vcc_lo
	global_load_dword v27, v[14:15], off
	v_add_co_u32 v18, vcc_lo, v16, s8
	v_add_co_ci_u32_e32 v19, vcc_lo, s9, v17, vcc_lo
	global_load_dword v14, v[16:17], off
	v_add_co_u32 v15, vcc_lo, v18, s6
	v_add_co_ci_u32_e32 v16, vcc_lo, s7, v19, vcc_lo
	v_add_co_u32 v20, vcc_lo, 0x2800, v133
	v_add_co_ci_u32_e32 v21, vcc_lo, 0, v134, vcc_lo
	global_load_dword v110, v[2:3], off offset:1952
	global_load_dword v3, v[15:16], off
	global_load_dword v2, v[18:19], off
	v_add_co_u32 v15, vcc_lo, v15, s6
	v_add_co_ci_u32_e32 v16, vcc_lo, s7, v16, vcc_lo
	v_add_co_u32 v17, vcc_lo, 0x800, v133
	v_add_co_ci_u32_e32 v18, vcc_lo, 0, v134, vcc_lo
	;; [unrolled: 2-line block ×4, first 2 shown]
	global_load_dword v28, v[15:16], off
	s_clause 0x1
	global_load_dword v109, v[20:21], off offset:128
	global_load_dword v107, v[17:18], off offset:112
	global_load_dword v29, v[22:23], off
	v_add_co_u32 v15, vcc_lo, v22, s6
	v_add_co_ci_u32_e32 v16, vcc_lo, s7, v23, vcc_lo
	global_load_dword v104, v[25:26], off offset:336
	v_add_co_u32 v22, vcc_lo, v15, s6
	v_add_co_ci_u32_e32 v23, vcc_lo, s7, v16, vcc_lo
	global_load_dword v30, v[15:16], off
	global_load_dword v102, v[20:21], off offset:560
	v_add_co_u32 v15, vcc_lo, v22, s8
	v_add_co_ci_u32_e32 v16, vcc_lo, s9, v23, vcc_lo
	global_load_dword v31, v[22:23], off
	v_add_co_u32 v22, vcc_lo, v15, s6
	v_add_co_ci_u32_e32 v23, vcc_lo, s7, v16, vcc_lo
	s_clause 0x1
	global_load_dword v100, v[25:26], off offset:768
	global_load_dword v101, v[17:18], off offset:544
	global_load_dword v32, v[15:16], off
	global_load_dword v33, v[22:23], off
	v_add_co_u32 v15, vcc_lo, v22, s6
	v_add_co_ci_u32_e32 v16, vcc_lo, s7, v23, vcc_lo
	global_load_dword v99, v[20:21], off offset:992
	v_add_co_u32 v22, vcc_lo, v15, s8
	v_add_co_ci_u32_e32 v23, vcc_lo, s9, v16, vcc_lo
	global_load_dword v34, v[15:16], off
	global_load_dword v98, v[17:18], off offset:976
	v_add_co_u32 v15, vcc_lo, v22, s6
	v_add_co_ci_u32_e32 v16, vcc_lo, s7, v23, vcc_lo
	global_load_dword v35, v[22:23], off
	s_clause 0x1
	global_load_dword v96, v[25:26], off offset:1200
	global_load_dword v163, v[25:26], off offset:1632
	v_add_co_u32 v22, vcc_lo, v15, s6
	v_add_co_ci_u32_e32 v23, vcc_lo, s7, v16, vcc_lo
	global_load_dword v25, v[15:16], off
	s_clause 0x1
	global_load_dword v106, v[20:21], off offset:1424
	global_load_dword v40, v[20:21], off offset:1856
	v_add_co_u32 v15, vcc_lo, v22, s8
	v_add_co_ci_u32_e32 v16, vcc_lo, s9, v23, vcc_lo
	global_load_dword v21, v[22:23], off
	global_load_dword v115, v[17:18], off offset:1408
	v_add_co_u32 v19, vcc_lo, v15, s6
	v_add_co_ci_u32_e32 v20, vcc_lo, s7, v16, vcc_lo
	global_load_dword v22, v[15:16], off
	v_add_co_u32 v15, vcc_lo, v19, s6
	v_add_co_ci_u32_e32 v16, vcc_lo, s7, v20, vcc_lo
	global_load_dword v19, v[19:20], off
	global_load_dword v39, v[17:18], off offset:1840
	v_add_co_u32 v17, vcc_lo, v15, s8
	v_add_co_ci_u32_e32 v18, vcc_lo, s9, v16, vcc_lo
	global_load_dword v20, v[15:16], off
	v_add_co_u32 v15, vcc_lo, v17, s6
	v_add_co_ci_u32_e32 v16, vcc_lo, s7, v18, vcc_lo
	global_load_dword v23, v[17:18], off
	v_add_co_u32 v17, vcc_lo, v15, s6
	v_add_co_ci_u32_e32 v18, vcc_lo, s7, v16, vcc_lo
	v_add_co_u32 v65, vcc_lo, 0x3000, v133
	global_load_dword v15, v[15:16], off
	v_add_co_ci_u32_e32 v66, vcc_lo, 0, v134, vcc_lo
	global_load_dword v16, v[17:18], off
	s_clause 0x1
	global_load_dword v38, v[0:1], off offset:16
	global_load_dword v37, v[65:66], off offset:240
	s_load_dwordx4 s[8:11], s[10:11], 0x0
	v_cmp_gt_u16_e32 vcc_lo, 0x5a, v24
	s_mov_b32 s6, 0x30abee4d
	s_mov_b32 s7, 0x3f343a27
	s_waitcnt vmcnt(57)
	v_lshrrev_b32_e32 v0, 16, v7
	v_mul_f16_sdwa v1, v126, v7 dst_sel:DWORD dst_unused:UNUSED_PAD src0_sel:WORD_1 src1_sel:DWORD
	s_waitcnt vmcnt(56)
	v_lshrrev_b32_e32 v17, 16, v6
	v_mul_f16_sdwa v26, v128, v6 dst_sel:DWORD dst_unused:UNUSED_PAD src0_sel:WORD_1 src1_sel:DWORD
	v_mul_f16_sdwa v18, v126, v0 dst_sel:DWORD dst_unused:UNUSED_PAD src0_sel:WORD_1 src1_sel:DWORD
	v_fma_f16 v0, v126, v0, -v1
	v_mul_f16_sdwa v1, v128, v17 dst_sel:DWORD dst_unused:UNUSED_PAD src0_sel:WORD_1 src1_sel:DWORD
	v_fma_f16 v17, v128, v17, -v26
	v_fmac_f16_e32 v18, v126, v7
	s_waitcnt vmcnt(55)
	v_lshrrev_b32_e32 v7, 16, v5
	s_waitcnt vmcnt(53)
	v_mul_f16_sdwa v26, v129, v5 dst_sel:DWORD dst_unused:UNUSED_PAD src0_sel:WORD_1 src1_sel:DWORD
	v_fmac_f16_e32 v1, v128, v6
	s_waitcnt vmcnt(52)
	v_mul_f16_sdwa v36, v127, v4 dst_sel:DWORD dst_unused:UNUSED_PAD src0_sel:WORD_1 src1_sel:DWORD
	v_pack_b32_f16 v0, v18, v0
	v_mul_f16_sdwa v6, v129, v7 dst_sel:DWORD dst_unused:UNUSED_PAD src0_sel:WORD_1 src1_sel:DWORD
	v_lshrrev_b32_e32 v18, 16, v4
	v_fma_f16 v7, v129, v7, -v26
	v_pack_b32_f16 v1, v1, v17
	s_waitcnt vmcnt(50)
	v_mul_f16_sdwa v26, v123, v13 dst_sel:DWORD dst_unused:UNUSED_PAD src0_sel:WORD_1 src1_sel:DWORD
	v_fmac_f16_e32 v6, v129, v5
	v_fma_f16 v5, v127, v18, -v36
	v_mul_f16_sdwa v17, v127, v18 dst_sel:DWORD dst_unused:UNUSED_PAD src0_sel:WORD_1 src1_sel:DWORD
	v_lshrrev_b32_e32 v18, 16, v13
	ds_write_b32 v130, v1 offset:4320
	v_pack_b32_f16 v1, v6, v7
	v_fmac_f16_e32 v17, v127, v4
	v_mul_f16_sdwa v6, v123, v18 dst_sel:DWORD dst_unused:UNUSED_PAD src0_sel:WORD_1 src1_sel:DWORD
	v_fma_f16 v4, v123, v18, -v26
	s_waitcnt vmcnt(48)
	v_lshrrev_b32_e32 v7, 16, v12
	ds_write_b32 v130, v1 offset:8640
	v_mul_f16_sdwa v1, v120, v12 dst_sel:DWORD dst_unused:UNUSED_PAD src0_sel:WORD_1 src1_sel:DWORD
	v_pack_b32_f16 v5, v17, v5
	v_fmac_f16_e32 v6, v123, v13
	v_mul_f16_sdwa v13, v120, v7 dst_sel:DWORD dst_unused:UNUSED_PAD src0_sel:WORD_1 src1_sel:DWORD
	v_add_nc_u32_e32 v26, 0x2c00, v130
	v_fma_f16 v1, v120, v7, -v1
	s_waitcnt vmcnt(46)
	v_lshrrev_b32_e32 v7, 16, v9
	ds_write2_b32 v130, v0, v5 offset1:108
	v_mul_f16_sdwa v0, v119, v9 dst_sel:DWORD dst_unused:UNUSED_PAD src0_sel:WORD_1 src1_sel:DWORD
	s_waitcnt vmcnt(45)
	v_lshrrev_b32_e32 v5, 16, v11
	v_pack_b32_f16 v4, v6, v4
	s_waitcnt vmcnt(44)
	v_mul_f16_sdwa v6, v118, v11 dst_sel:DWORD dst_unused:UNUSED_PAD src0_sel:WORD_1 src1_sel:DWORD
	v_fmac_f16_e32 v13, v120, v12
	v_fma_f16 v0, v119, v7, -v0
	v_mul_f16_sdwa v7, v119, v7 dst_sel:DWORD dst_unused:UNUSED_PAD src0_sel:WORD_1 src1_sel:DWORD
	v_mul_f16_sdwa v12, v118, v5 dst_sel:DWORD dst_unused:UNUSED_PAD src0_sel:WORD_1 src1_sel:DWORD
	v_fma_f16 v5, v118, v5, -v6
	s_waitcnt vmcnt(42)
	v_lshrrev_b32_e32 v6, 16, v10
	v_pack_b32_f16 v1, v13, v1
	v_fmac_f16_e32 v7, v119, v9
	v_fmac_f16_e32 v12, v118, v11
	s_waitcnt vmcnt(38)
	v_lshrrev_b32_e32 v11, 16, v8
	v_mul_f16_sdwa v9, v117, v6 dst_sel:DWORD dst_unused:UNUSED_PAD src0_sel:WORD_1 src1_sel:DWORD
	v_mul_f16_sdwa v13, v117, v10 dst_sel:DWORD dst_unused:UNUSED_PAD src0_sel:WORD_1 src1_sel:DWORD
	v_pack_b32_f16 v0, v7, v0
	v_mul_f16_sdwa v7, v114, v8 dst_sel:DWORD dst_unused:UNUSED_PAD src0_sel:WORD_1 src1_sel:DWORD
	v_pack_b32_f16 v5, v12, v5
	v_fmac_f16_e32 v9, v117, v10
	v_mul_f16_sdwa v10, v114, v11 dst_sel:DWORD dst_unused:UNUSED_PAD src0_sel:WORD_1 src1_sel:DWORD
	v_fma_f16 v6, v117, v6, -v13
	v_fma_f16 v7, v114, v11, -v7
	ds_write2_b32 v141, v4, v5 offset0:36 offset1:144
	s_waitcnt vmcnt(36)
	v_lshrrev_b32_e32 v4, 16, v27
	v_mul_f16_sdwa v5, v112, v27 dst_sel:DWORD dst_unused:UNUSED_PAD src0_sel:WORD_1 src1_sel:DWORD
	v_fmac_f16_e32 v10, v114, v8
	v_pack_b32_f16 v6, v9, v6
	s_waitcnt vmcnt(33)
	v_lshrrev_b32_e32 v8, 16, v3
	v_fma_f16 v5, v112, v4, -v5
	v_mul_f16_sdwa v4, v112, v4 dst_sel:DWORD dst_unused:UNUSED_PAD src0_sel:WORD_1 src1_sel:DWORD
	v_pack_b32_f16 v7, v10, v7
	ds_write2_b32 v140, v1, v6 offset0:92 offset1:200
	v_lshrrev_b32_e32 v1, 16, v14
	v_mul_f16_sdwa v6, v113, v14 dst_sel:DWORD dst_unused:UNUSED_PAD src0_sel:WORD_1 src1_sel:DWORD
	v_fmac_f16_e32 v4, v112, v27
	ds_write2_b32 v124, v0, v7 offset0:88 offset1:196
	v_mul_f16_sdwa v0, v110, v3 dst_sel:DWORD dst_unused:UNUSED_PAD src0_sel:WORD_1 src1_sel:DWORD
	v_mul_f16_sdwa v7, v110, v8 dst_sel:DWORD dst_unused:UNUSED_PAD src0_sel:WORD_1 src1_sel:DWORD
	v_fma_f16 v6, v113, v1, -v6
	v_mul_f16_sdwa v1, v113, v1 dst_sel:DWORD dst_unused:UNUSED_PAD src0_sel:WORD_1 src1_sel:DWORD
	v_pack_b32_f16 v4, v4, v5
	s_waitcnt vmcnt(32)
	v_lshrrev_b32_e32 v5, 16, v2
	v_fma_f16 v0, v110, v8, -v0
	v_mul_f16_sdwa v8, v108, v2 dst_sel:DWORD dst_unused:UNUSED_PAD src0_sel:WORD_1 src1_sel:DWORD
	v_fmac_f16_e32 v7, v110, v3
	v_fmac_f16_e32 v1, v113, v14
	v_fma_f16 v3, v108, v5, -v8
	v_mul_f16_sdwa v5, v108, v5 dst_sel:DWORD dst_unused:UNUSED_PAD src0_sel:WORD_1 src1_sel:DWORD
	v_pack_b32_f16 v0, v7, v0
	s_waitcnt vmcnt(31)
	v_lshrrev_b32_e32 v7, 16, v28
	v_pack_b32_f16 v1, v1, v6
	s_waitcnt vmcnt(30)
	v_mul_f16_sdwa v6, v109, v28 dst_sel:DWORD dst_unused:UNUSED_PAD src0_sel:WORD_1 src1_sel:DWORD
	v_fmac_f16_e32 v5, v108, v2
	ds_write2_b32 v121, v4, v0 offset0:124 offset1:232
	s_waitcnt vmcnt(28)
	v_lshrrev_b32_e32 v0, 16, v29
	v_mul_f16_sdwa v2, v109, v7 dst_sel:DWORD dst_unused:UNUSED_PAD src0_sel:WORD_1 src1_sel:DWORD
	v_fma_f16 v4, v109, v7, -v6
	v_mul_f16_sdwa v6, v107, v29 dst_sel:DWORD dst_unused:UNUSED_PAD src0_sel:WORD_1 src1_sel:DWORD
	v_pack_b32_f16 v3, v5, v3
	v_mul_f16_sdwa v5, v107, v0 dst_sel:DWORD dst_unused:UNUSED_PAD src0_sel:WORD_1 src1_sel:DWORD
	v_fmac_f16_e32 v2, v109, v28
	s_waitcnt vmcnt(26)
	v_lshrrev_b32_e32 v7, 16, v30
	v_fma_f16 v0, v107, v0, -v6
	v_mul_f16_sdwa v6, v104, v30 dst_sel:DWORD dst_unused:UNUSED_PAD src0_sel:WORD_1 src1_sel:DWORD
	v_fmac_f16_e32 v5, v107, v29
	v_pack_b32_f16 v2, v2, v4
	v_mul_f16_sdwa v4, v104, v7 dst_sel:DWORD dst_unused:UNUSED_PAD src0_sel:WORD_1 src1_sel:DWORD
	s_waitcnt vmcnt(24)
	v_lshrrev_b32_e32 v8, 16, v31
	v_fma_f16 v6, v104, v7, -v6
	v_mul_f16_sdwa v7, v102, v31 dst_sel:DWORD dst_unused:UNUSED_PAD src0_sel:WORD_1 src1_sel:DWORD
	v_pack_b32_f16 v0, v5, v0
	ds_write2_b32 v138, v1, v2 offset0:52 offset1:160
	v_fmac_f16_e32 v4, v104, v30
	v_mul_f16_sdwa v1, v102, v8 dst_sel:DWORD dst_unused:UNUSED_PAD src0_sel:WORD_1 src1_sel:DWORD
	v_fma_f16 v2, v102, v8, -v7
	s_waitcnt vmcnt(21)
	v_lshrrev_b32_e32 v5, 16, v32
	v_mul_f16_sdwa v7, v101, v32 dst_sel:DWORD dst_unused:UNUSED_PAD src0_sel:WORD_1 src1_sel:DWORD
	ds_write2_b32 v95, v3, v0 offset0:48 offset1:156
	s_waitcnt vmcnt(20)
	v_lshrrev_b32_e32 v0, 16, v33
	v_mul_f16_sdwa v3, v100, v33 dst_sel:DWORD dst_unused:UNUSED_PAD src0_sel:WORD_1 src1_sel:DWORD
	v_pack_b32_f16 v4, v4, v6
	v_fmac_f16_e32 v1, v102, v31
	v_fma_f16 v6, v101, v5, -v7
	v_mul_f16_sdwa v5, v101, v5 dst_sel:DWORD dst_unused:UNUSED_PAD src0_sel:WORD_1 src1_sel:DWORD
	v_fma_f16 v3, v100, v0, -v3
	v_mul_f16_sdwa v0, v100, v0 dst_sel:DWORD dst_unused:UNUSED_PAD src0_sel:WORD_1 src1_sel:DWORD
	s_waitcnt vmcnt(18)
	v_lshrrev_b32_e32 v7, 16, v34
	v_mul_f16_sdwa v8, v99, v34 dst_sel:DWORD dst_unused:UNUSED_PAD src0_sel:WORD_1 src1_sel:DWORD
	v_pack_b32_f16 v1, v1, v2
	v_fmac_f16_e32 v5, v101, v32
	v_fmac_f16_e32 v0, v100, v33
	v_mul_f16_sdwa v2, v99, v7 dst_sel:DWORD dst_unused:UNUSED_PAD src0_sel:WORD_1 src1_sel:DWORD
	s_waitcnt vmcnt(16)
	v_lshrrev_b32_e32 v9, 16, v35
	v_mul_f16_sdwa v10, v98, v35 dst_sel:DWORD dst_unused:UNUSED_PAD src0_sel:WORD_1 src1_sel:DWORD
	v_fma_f16 v7, v99, v7, -v8
	v_pack_b32_f16 v5, v5, v6
	v_pack_b32_f16 v0, v0, v3
	v_fmac_f16_e32 v2, v99, v34
	v_mul_f16_sdwa v6, v98, v9 dst_sel:DWORD dst_unused:UNUSED_PAD src0_sel:WORD_1 src1_sel:DWORD
	v_fma_f16 v3, v98, v9, -v10
	s_waitcnt vmcnt(13)
	v_lshrrev_b32_e32 v8, 16, v25
	ds_write2_b32 v139, v4, v0 offset0:84 offset1:192
	v_pack_b32_f16 v0, v2, v7
	v_fmac_f16_e32 v6, v98, v35
	s_waitcnt vmcnt(10)
	v_lshrrev_b32_e32 v4, 16, v21
	v_mul_f16_sdwa v7, v106, v21 dst_sel:DWORD dst_unused:UNUSED_PAD src0_sel:WORD_1 src1_sel:DWORD
	v_mul_f16_sdwa v9, v96, v25 dst_sel:DWORD dst_unused:UNUSED_PAD src0_sel:WORD_1 src1_sel:DWORD
	ds_write2_b32 v116, v1, v0 offset0:140 offset1:248
	v_pack_b32_f16 v0, v6, v3
	v_mul_f16_sdwa v3, v106, v4 dst_sel:DWORD dst_unused:UNUSED_PAD src0_sel:WORD_1 src1_sel:DWORD
	v_fma_f16 v1, v106, v4, -v7
	s_waitcnt vmcnt(8)
	v_lshrrev_b32_e32 v4, 16, v22
	v_mul_f16_sdwa v2, v96, v8 dst_sel:DWORD dst_unused:UNUSED_PAD src0_sel:WORD_1 src1_sel:DWORD
	v_mul_f16_sdwa v6, v115, v22 dst_sel:DWORD dst_unused:UNUSED_PAD src0_sel:WORD_1 src1_sel:DWORD
	v_fma_f16 v8, v96, v8, -v9
	v_fmac_f16_e32 v3, v106, v21
	v_mul_f16_sdwa v7, v115, v4 dst_sel:DWORD dst_unused:UNUSED_PAD src0_sel:WORD_1 src1_sel:DWORD
	v_fmac_f16_e32 v2, v96, v25
	v_fma_f16 v4, v115, v4, -v6
	s_waitcnt vmcnt(5)
	v_lshrrev_b32_e32 v6, 16, v20
	s_waitcnt vmcnt(4)
	v_lshrrev_b32_e32 v9, 16, v23
	v_fmac_f16_e32 v7, v115, v22
	v_pack_b32_f16 v2, v2, v8
	v_mul_f16_sdwa v8, v40, v20 dst_sel:DWORD dst_unused:UNUSED_PAD src0_sel:WORD_1 src1_sel:DWORD
	v_mul_f16_sdwa v10, v39, v23 dst_sel:DWORD dst_unused:UNUSED_PAD src0_sel:WORD_1 src1_sel:DWORD
	ds_write2_b32 v105, v5, v0 offset0:136 offset1:244
	v_lshrrev_b32_e32 v0, 16, v19
	v_mul_f16_sdwa v5, v163, v19 dst_sel:DWORD dst_unused:UNUSED_PAD src0_sel:WORD_1 src1_sel:DWORD
	v_pack_b32_f16 v4, v7, v4
	s_waitcnt vmcnt(3)
	v_lshrrev_b32_e32 v7, 16, v15
	v_pack_b32_f16 v1, v3, v1
	v_mul_f16_sdwa v3, v40, v6 dst_sel:DWORD dst_unused:UNUSED_PAD src0_sel:WORD_1 src1_sel:DWORD
	v_fma_f16 v6, v40, v6, -v8
	v_fma_f16 v8, v39, v9, -v10
	s_waitcnt vmcnt(2)
	v_lshrrev_b32_e32 v10, 16, v16
	v_fma_f16 v5, v163, v0, -v5
	v_mul_f16_sdwa v0, v163, v0 dst_sel:DWORD dst_unused:UNUSED_PAD src0_sel:WORD_1 src1_sel:DWORD
	v_mul_f16_sdwa v9, v39, v9 dst_sel:DWORD dst_unused:UNUSED_PAD src0_sel:WORD_1 src1_sel:DWORD
	s_waitcnt vmcnt(1)
	v_mul_f16_sdwa v11, v38, v15 dst_sel:DWORD dst_unused:UNUSED_PAD src0_sel:WORD_1 src1_sel:DWORD
	v_mul_f16_sdwa v12, v38, v7 dst_sel:DWORD dst_unused:UNUSED_PAD src0_sel:WORD_1 src1_sel:DWORD
	s_waitcnt vmcnt(0)
	v_mul_f16_sdwa v13, v37, v16 dst_sel:DWORD dst_unused:UNUSED_PAD src0_sel:WORD_1 src1_sel:DWORD
	v_mul_f16_sdwa v14, v37, v10 dst_sel:DWORD dst_unused:UNUSED_PAD src0_sel:WORD_1 src1_sel:DWORD
	v_fmac_f16_e32 v0, v163, v19
	v_fmac_f16_e32 v3, v40, v20
	;; [unrolled: 1-line block ×3, first 2 shown]
	v_fma_f16 v7, v38, v7, -v11
	v_fmac_f16_e32 v12, v38, v15
	v_fma_f16 v10, v37, v10, -v13
	v_fmac_f16_e32 v14, v37, v16
	v_pack_b32_f16 v0, v0, v5
	v_pack_b32_f16 v3, v3, v6
	;; [unrolled: 1-line block ×5, first 2 shown]
	buffer_store_dword v40, off, s[20:23], 0 offset:12 ; 4-byte Folded Spill
	buffer_store_dword v39, off, s[20:23], 0 offset:8 ; 4-byte Folded Spill
	;; [unrolled: 1-line block ×3, first 2 shown]
	buffer_store_dword v37, off, s[20:23], 0 ; 4-byte Folded Spill
	ds_write2_b32 v137, v2, v0 offset0:44 offset1:152
	ds_write2_b32 v26, v1, v3 offset0:100 offset1:208
	ds_write2_b32 v92, v4, v5 offset0:96 offset1:204
	ds_write_b32 v130, v6 offset:8208
	ds_write_b32 v130, v7 offset:12528
	s_waitcnt lgkmcnt(0)
	s_waitcnt_vscnt null, 0x0
	s_barrier
	buffer_gl0_inv
	ds_read2_b32 v[0:1], v130 offset1:108
	ds_read2_b32 v[2:3], v132 offset0:56 offset1:164
	ds_read2_b32 v[4:5], v131 offset0:112 offset1:220
	;; [unrolled: 1-line block ×4, first 2 shown]
	s_waitcnt lgkmcnt(4)
	v_lshrrev_b32_e32 v14, 16, v0
	v_lshrrev_b32_e32 v15, 16, v1
	s_waitcnt lgkmcnt(3)
	v_add_f16_e32 v10, v0, v2
	s_waitcnt lgkmcnt(2)
	v_add_f16_e32 v16, v2, v4
	v_sub_f16_sdwa v17, v2, v4 dst_sel:DWORD dst_unused:UNUSED_PAD src0_sel:WORD_1 src1_sel:WORD_1
	v_add_f16_sdwa v18, v2, v4 dst_sel:DWORD dst_unused:UNUSED_PAD src0_sel:WORD_1 src1_sel:WORD_1
	v_sub_f16_e32 v19, v2, v4
	v_add_f16_e32 v11, v1, v3
	v_add_f16_e32 v20, v3, v5
	v_sub_f16_sdwa v21, v3, v5 dst_sel:DWORD dst_unused:UNUSED_PAD src0_sel:WORD_1 src1_sel:WORD_1
	v_add_f16_sdwa v22, v3, v5 dst_sel:DWORD dst_unused:UNUSED_PAD src0_sel:WORD_1 src1_sel:WORD_1
	v_sub_f16_e32 v23, v3, v5
	v_add_f16_sdwa v2, v14, v2 dst_sel:DWORD dst_unused:UNUSED_PAD src0_sel:DWORD src1_sel:WORD_1
	v_add_f16_sdwa v3, v15, v3 dst_sel:DWORD dst_unused:UNUSED_PAD src0_sel:DWORD src1_sel:WORD_1
	s_waitcnt lgkmcnt(1)
	v_lshrrev_b32_e32 v29, 16, v6
	v_lshrrev_b32_e32 v30, 16, v7
	v_add_f16_e32 v25, v10, v4
	v_add_f16_sdwa v27, v2, v4 dst_sel:DWORD dst_unused:UNUSED_PAD src0_sel:DWORD src1_sel:WORD_1
	v_add_f16_sdwa v28, v3, v5 dst_sel:DWORD dst_unused:UNUSED_PAD src0_sel:DWORD src1_sel:WORD_1
	ds_read2_b32 v[2:3], v122 offset0:72 offset1:180
	v_add_f16_e32 v26, v11, v5
	s_waitcnt lgkmcnt(1)
	v_add_f16_e32 v4, v6, v8
	v_add_f16_e32 v5, v7, v9
	v_add_f16_sdwa v10, v30, v9 dst_sel:DWORD dst_unused:UNUSED_PAD src0_sel:DWORD src1_sel:WORD_1
	v_fmac_f16_e32 v1, -0.5, v20
	v_fmac_f16_e32 v15, -0.5, v22
	v_fma_f16 v0, -0.5, v16, v0
	v_fmac_f16_e32 v14, -0.5, v18
	v_mul_lo_u16 v18, v24, 3
	v_fmamk_f16 v20, v23, 0xbaee, v15
	v_fmac_f16_e32 v15, 0x3aee, v23
	v_fmamk_f16 v16, v19, 0xbaee, v14
	v_fmac_f16_e32 v14, 0x3aee, v19
	s_waitcnt lgkmcnt(0)
	v_add_f16_e32 v31, v8, v2
	v_sub_f16_sdwa v32, v8, v2 dst_sel:DWORD dst_unused:UNUSED_PAD src0_sel:WORD_1 src1_sel:WORD_1
	v_add_f16_sdwa v33, v8, v2 dst_sel:DWORD dst_unused:UNUSED_PAD src0_sel:WORD_1 src1_sel:WORD_1
	v_sub_f16_e32 v34, v8, v2
	v_add_f16_sdwa v8, v29, v8 dst_sel:DWORD dst_unused:UNUSED_PAD src0_sel:DWORD src1_sel:WORD_1
	v_add_f16_e32 v35, v9, v3
	v_sub_f16_sdwa v36, v9, v3 dst_sel:DWORD dst_unused:UNUSED_PAD src0_sel:WORD_1 src1_sel:WORD_1
	v_add_f16_sdwa v37, v9, v3 dst_sel:DWORD dst_unused:UNUSED_PAD src0_sel:WORD_1 src1_sel:WORD_1
	v_sub_f16_e32 v38, v9, v3
	v_add_f16_e32 v39, v4, v2
	v_add_f16_e32 v40, v5, v3
	v_add_f16_sdwa v41, v8, v2 dst_sel:DWORD dst_unused:UNUSED_PAD src0_sel:DWORD src1_sel:WORD_1
	v_add_f16_sdwa v42, v10, v3 dst_sel:DWORD dst_unused:UNUSED_PAD src0_sel:DWORD src1_sel:WORD_1
	ds_read2_b32 v[2:3], v95 offset0:48 offset1:156
	ds_read2_b32 v[4:5], v111 offset0:104 offset1:212
	;; [unrolled: 1-line block ×3, first 2 shown]
	v_fmac_f16_e32 v29, -0.5, v33
	v_fmac_f16_e32 v7, -0.5, v35
	;; [unrolled: 1-line block ×3, first 2 shown]
	s_waitcnt lgkmcnt(2)
	v_lshrrev_b32_e32 v43, 16, v2
	v_lshrrev_b32_e32 v44, 16, v3
	s_waitcnt lgkmcnt(1)
	v_add_f16_e32 v10, v2, v4
	s_waitcnt lgkmcnt(0)
	v_add_f16_e32 v45, v4, v8
	v_sub_f16_sdwa v46, v4, v8 dst_sel:DWORD dst_unused:UNUSED_PAD src0_sel:WORD_1 src1_sel:WORD_1
	v_add_f16_sdwa v47, v4, v8 dst_sel:DWORD dst_unused:UNUSED_PAD src0_sel:WORD_1 src1_sel:WORD_1
	v_sub_f16_e32 v48, v4, v8
	v_add_f16_sdwa v4, v43, v4 dst_sel:DWORD dst_unused:UNUSED_PAD src0_sel:DWORD src1_sel:WORD_1
	v_add_f16_e32 v11, v3, v5
	v_add_f16_e32 v49, v5, v9
	v_sub_f16_sdwa v50, v5, v9 dst_sel:DWORD dst_unused:UNUSED_PAD src0_sel:WORD_1 src1_sel:WORD_1
	v_add_f16_sdwa v51, v5, v9 dst_sel:DWORD dst_unused:UNUSED_PAD src0_sel:WORD_1 src1_sel:WORD_1
	v_add_f16_sdwa v12, v44, v5 dst_sel:DWORD dst_unused:UNUSED_PAD src0_sel:DWORD src1_sel:WORD_1
	v_sub_f16_e32 v52, v5, v9
	v_add_f16_sdwa v55, v4, v8 dst_sel:DWORD dst_unused:UNUSED_PAD src0_sel:DWORD src1_sel:WORD_1
	ds_read2_b32 v[4:5], v105 offset0:136 offset1:244
	v_add_f16_e32 v53, v10, v8
	v_add_f16_e32 v54, v11, v9
	v_add_f16_sdwa v56, v12, v9 dst_sel:DWORD dst_unused:UNUSED_PAD src0_sel:DWORD src1_sel:WORD_1
	ds_read2_b32 v[8:9], v91 offset0:64 offset1:172
	ds_read2_b32 v[10:11], v93 offset0:120 offset1:228
	v_fmac_f16_e32 v43, -0.5, v47
	v_fmac_f16_e32 v3, -0.5, v49
	;; [unrolled: 1-line block ×3, first 2 shown]
	s_waitcnt lgkmcnt(2)
	v_lshrrev_b32_e32 v57, 16, v4
	v_lshrrev_b32_e32 v58, 16, v5
	s_waitcnt lgkmcnt(1)
	v_add_f16_e32 v12, v4, v8
	s_waitcnt lgkmcnt(0)
	v_add_f16_e32 v59, v8, v10
	v_sub_f16_sdwa v60, v8, v10 dst_sel:DWORD dst_unused:UNUSED_PAD src0_sel:WORD_1 src1_sel:WORD_1
	v_add_f16_sdwa v61, v8, v10 dst_sel:DWORD dst_unused:UNUSED_PAD src0_sel:WORD_1 src1_sel:WORD_1
	v_sub_f16_e32 v62, v8, v10
	v_add_f16_sdwa v8, v57, v8 dst_sel:DWORD dst_unused:UNUSED_PAD src0_sel:DWORD src1_sel:WORD_1
	v_add_f16_e32 v13, v5, v9
	v_add_f16_e32 v63, v9, v11
	v_sub_f16_sdwa v67, v9, v11 dst_sel:DWORD dst_unused:UNUSED_PAD src0_sel:WORD_1 src1_sel:WORD_1
	v_add_f16_sdwa v68, v9, v11 dst_sel:DWORD dst_unused:UNUSED_PAD src0_sel:WORD_1 src1_sel:WORD_1
	v_add_f16_sdwa v69, v58, v9 dst_sel:DWORD dst_unused:UNUSED_PAD src0_sel:DWORD src1_sel:WORD_1
	v_sub_f16_e32 v70, v9, v11
	v_add_f16_sdwa v73, v8, v10 dst_sel:DWORD dst_unused:UNUSED_PAD src0_sel:DWORD src1_sel:WORD_1
	ds_read2_b32 v[8:9], v92 offset0:96 offset1:204
	v_add_f16_e32 v71, v12, v10
	v_add_f16_e32 v72, v13, v11
	v_add_f16_sdwa v69, v69, v11 dst_sel:DWORD dst_unused:UNUSED_PAD src0_sel:DWORD src1_sel:WORD_1
	ds_read2_b32 v[10:11], v97 offset0:24 offset1:132
	ds_read2_b32 v[12:13], v103 offset0:80 offset1:188
	v_fmac_f16_e32 v57, -0.5, v61
	v_fmac_f16_e32 v5, -0.5, v63
	;; [unrolled: 1-line block ×3, first 2 shown]
	s_waitcnt lgkmcnt(2)
	v_lshrrev_b32_e32 v74, 16, v8
	v_lshrrev_b32_e32 v75, 16, v9
	s_waitcnt lgkmcnt(1)
	v_add_f16_e32 v76, v8, v10
	s_waitcnt lgkmcnt(0)
	v_add_f16_e32 v77, v10, v12
	v_sub_f16_sdwa v78, v10, v12 dst_sel:DWORD dst_unused:UNUSED_PAD src0_sel:WORD_1 src1_sel:WORD_1
	v_add_f16_sdwa v79, v10, v12 dst_sel:DWORD dst_unused:UNUSED_PAD src0_sel:WORD_1 src1_sel:WORD_1
	v_sub_f16_e32 v80, v10, v12
	v_add_f16_e32 v81, v9, v11
	v_add_f16_sdwa v10, v74, v10 dst_sel:DWORD dst_unused:UNUSED_PAD src0_sel:DWORD src1_sel:WORD_1
	v_add_f16_sdwa v85, v75, v11 dst_sel:DWORD dst_unused:UNUSED_PAD src0_sel:DWORD src1_sel:WORD_1
	v_add_f16_e32 v82, v11, v13
	v_sub_f16_sdwa v83, v11, v13 dst_sel:DWORD dst_unused:UNUSED_PAD src0_sel:WORD_1 src1_sel:WORD_1
	v_add_f16_sdwa v84, v11, v13 dst_sel:DWORD dst_unused:UNUSED_PAD src0_sel:WORD_1 src1_sel:WORD_1
	v_sub_f16_e32 v11, v11, v13
	v_add_f16_e32 v76, v76, v12
	v_add_f16_e32 v81, v81, v13
	v_add_f16_sdwa v10, v10, v12 dst_sel:DWORD dst_unused:UNUSED_PAD src0_sel:DWORD src1_sel:WORD_1
	v_add_f16_sdwa v12, v85, v13 dst_sel:DWORD dst_unused:UNUSED_PAD src0_sel:DWORD src1_sel:WORD_1
	v_fmamk_f16 v13, v21, 0x3aee, v1
	v_fmac_f16_e32 v1, 0xbaee, v21
	v_fmac_f16_e32 v74, -0.5, v79
	v_fmac_f16_e32 v9, -0.5, v82
	;; [unrolled: 1-line block ×3, first 2 shown]
	v_pack_b32_f16 v13, v13, v20
	v_pack_b32_f16 v1, v1, v15
	v_fmamk_f16 v15, v17, 0x3aee, v0
	v_fmac_f16_e32 v0, 0xbaee, v17
	v_add_co_u32 v20, null, 0x6c, v125
	v_and_b32_e32 v17, 0xff, v24
	v_pack_b32_f16 v15, v15, v16
	v_pack_b32_f16 v16, v25, v27
	v_mov_b32_e32 v25, 2
	v_pack_b32_f16 v0, v0, v14
	v_pack_b32_f16 v14, v26, v28
	v_add_co_u32 v26, null, 0xd8, v125
	v_lshlrev_b32_sdwa v18, v25, v18 dst_sel:DWORD dst_unused:UNUSED_PAD src0_sel:DWORD src1_sel:WORD_0
	v_add_co_u32 v27, null, 0x144, v125
	v_and_b32_e32 v21, 0xff, v20
	buffer_store_dword v18, off, s[20:23], 0 offset:24 ; 4-byte Folded Spill
	s_waitcnt_vscnt null, 0x0
	s_barrier
	buffer_gl0_inv
	ds_write_b32 v18, v0 offset:8
	v_mul_u32_u24_e32 v0, 3, v20
	ds_write2_b32 v18, v16, v15 offset1:1
	v_add_co_u32 v16, null, 0x1b0, v125
	v_lshlrev_b32_e32 v144, 2, v0
	v_fma_f16 v0, -0.5, v31, v6
	ds_write2_b32 v144, v14, v13 offset1:1
	v_fmamk_f16 v6, v32, 0x3aee, v0
	v_fmamk_f16 v13, v34, 0xbaee, v29
	ds_write_b32 v144, v1 offset:8
	v_mul_u32_u24_e32 v1, 3, v26
	v_fmac_f16_e32 v0, 0xbaee, v32
	v_fmac_f16_e32 v29, 0x3aee, v34
	v_pack_b32_f16 v6, v6, v13
	v_pack_b32_f16 v13, v39, v41
	v_lshlrev_b32_e32 v145, 2, v1
	v_fmamk_f16 v1, v36, 0x3aee, v7
	v_pack_b32_f16 v0, v0, v29
	v_fmac_f16_e32 v7, 0xbaee, v36
	v_add_co_u32 v14, null, 0x2f4, v125
	ds_write2_b32 v145, v13, v6 offset1:1
	v_fmamk_f16 v6, v38, 0xbaee, v30
	ds_write_b32 v145, v0 offset:8
	v_fmac_f16_e32 v30, 0x3aee, v38
	v_add_co_u32 v13, null, 0x288, v125
	v_pack_b32_f16 v0, v1, v6
	v_mul_u32_u24_e32 v6, 3, v27
	v_pack_b32_f16 v1, v40, v42
	v_pack_b32_f16 v7, v7, v30
	v_lshlrev_b32_e32 v146, 2, v6
	v_mul_u32_u24_e32 v6, 3, v16
	ds_write2_b32 v146, v1, v0 offset1:1
	v_fma_f16 v0, -0.5, v45, v2
	v_fmamk_f16 v2, v48, 0xbaee, v43
	v_lshlrev_b32_e32 v147, 2, v6
	v_fmac_f16_e32 v43, 0x3aee, v48
	ds_write_b32 v146, v7 offset:8
	v_fmamk_f16 v1, v46, 0x3aee, v0
	v_fmac_f16_e32 v0, 0xbaee, v46
	v_add_co_u32 v7, null, 0x3cc, v125
	v_pack_b32_f16 v1, v1, v2
	v_pack_b32_f16 v2, v53, v55
	;; [unrolled: 1-line block ×3, first 2 shown]
	ds_write2_b32 v147, v2, v1 offset1:1
	v_fmamk_f16 v1, v50, 0x3aee, v3
	v_fmamk_f16 v2, v52, 0xbaee, v44
	ds_write_b32 v147, v0 offset:8
	v_fmac_f16_e32 v3, 0xbaee, v50
	v_fmac_f16_e32 v44, 0x3aee, v52
	v_pack_b32_f16 v0, v1, v2
	v_add_co_u32 v2, null, 0x21c, v125
	v_pack_b32_f16 v1, v54, v56
	v_pack_b32_f16 v3, v3, v44
	v_mul_u32_u24_e32 v6, 3, v2
	v_lshlrev_b32_e32 v148, 2, v6
	ds_write2_b32 v148, v1, v0 offset1:1
	v_fma_f16 v0, -0.5, v59, v4
	ds_write_b32 v148, v3 offset:8
	v_fmamk_f16 v3, v62, 0xbaee, v57
	v_mul_u32_u24_e32 v4, 3, v13
	v_fmac_f16_e32 v57, 0x3aee, v62
	v_fmamk_f16 v1, v60, 0x3aee, v0
	v_fmac_f16_e32 v0, 0xbaee, v60
	v_mov_b32_e32 v59, 9
	v_lshlrev_b32_e32 v149, 2, v4
	v_pack_b32_f16 v1, v1, v3
	v_pack_b32_f16 v3, v71, v73
	;; [unrolled: 1-line block ×3, first 2 shown]
	ds_write2_b32 v149, v3, v1 offset1:1
	v_fmamk_f16 v1, v67, 0x3aee, v5
	v_fmamk_f16 v3, v70, 0xbaee, v58
	ds_write_b32 v149, v0 offset:8
	v_fmac_f16_e32 v5, 0xbaee, v67
	v_fmac_f16_e32 v58, 0x3aee, v70
	v_pack_b32_f16 v0, v1, v3
	v_mul_u32_u24_e32 v3, 3, v14
	v_pack_b32_f16 v1, v72, v69
	v_pack_b32_f16 v4, v5, v58
	v_add_co_u32 v5, null, 0x360, v125
	v_lshlrev_b32_e32 v150, 2, v3
	v_fmamk_f16 v3, v80, 0xbaee, v74
	v_fmac_f16_e32 v74, 0x3aee, v80
	ds_write2_b32 v150, v1, v0 offset1:1
	v_fma_f16 v0, -0.5, v77, v8
	ds_write_b32 v150, v4 offset:8
	v_mul_u32_u24_e32 v4, 3, v5
	v_mov_b32_e32 v8, 0xaaab
	v_fmamk_f16 v1, v78, 0x3aee, v0
	v_fmac_f16_e32 v0, 0xbaee, v78
	v_lshlrev_b32_e32 v151, 2, v4
	v_pack_b32_f16 v1, v1, v3
	v_pack_b32_f16 v3, v76, v10
	;; [unrolled: 1-line block ×3, first 2 shown]
	ds_write2_b32 v151, v3, v1 offset1:1
	v_fmamk_f16 v1, v83, 0x3aee, v9
	v_fmac_f16_e32 v9, 0xbaee, v83
	v_fmamk_f16 v3, v11, 0xbaee, v75
	v_fmac_f16_e32 v75, 0x3aee, v11
	ds_write_b32 v151, v0 offset:8
	v_mul_u32_u24_e32 v0, 3, v7
	v_pack_b32_f16 v1, v1, v3
	v_pack_b32_f16 v4, v9, v75
	v_mul_lo_u16 v9, 0xab, v17
	v_pack_b32_f16 v3, v81, v12
	v_lshlrev_b32_e32 v152, 2, v0
	v_mul_u32_u24_sdwa v0, v2, v8 dst_sel:DWORD dst_unused:UNUSED_PAD src0_sel:WORD_0 src1_sel:DWORD
	ds_write2_b32 v152, v3, v1 offset1:1
	ds_write_b32 v152, v4 offset:8
	v_lshrrev_b16 v11, 9, v9
	v_mul_lo_u16 v9, 0xab, v21
	v_lshrrev_b32_e32 v4, 17, v0
	s_waitcnt lgkmcnt(0)
	s_barrier
	buffer_gl0_inv
	v_lshrrev_b16 v15, 9, v9
	v_mul_lo_u16 v9, v11, 3
	v_mul_lo_u16 v0, v4, 3
	;; [unrolled: 1-line block ×4, first 2 shown]
	v_sub_nc_u16 v9, v24, v9
	v_sub_nc_u16 v6, v2, v0
	v_mul_u32_u24_sdwa v0, v13, v8 dst_sel:DWORD dst_unused:UNUSED_PAD src0_sel:WORD_0 src1_sel:DWORD
	v_mul_u32_u24_sdwa v15, v15, v59 dst_sel:DWORD dst_unused:UNUSED_PAD src0_sel:WORD_0 src1_sel:DWORD
	v_sub_nc_u16 v10, v20, v10
	v_and_b32_e32 v12, 0xff, v9
	v_mul_u32_u24_sdwa v9, v26, v8 dst_sel:DWORD dst_unused:UNUSED_PAD src0_sel:WORD_0 src1_sel:DWORD
	v_lshrrev_b32_e32 v2, 17, v0
	v_mad_u16 v4, v4, 9, v6
	v_and_b32_e32 v40, 0xff, v10
	v_lshrrev_b32_e32 v41, 17, v9
	v_mul_u32_u24_sdwa v9, v27, v8 dst_sel:DWORD dst_unused:UNUSED_PAD src0_sel:WORD_0 src1_sel:DWORD
	v_mul_lo_u16 v0, v2, 3
	v_add_lshl_u32 v154, v15, v40, 2
	v_lshlrev_b32_sdwa v158, v25, v4 dst_sel:DWORD dst_unused:UNUSED_PAD src0_sel:DWORD src1_sel:WORD_0
	v_lshrrev_b32_e32 v42, 17, v9
	v_mul_lo_u16 v9, v41, 3
	v_sub_nc_u16 v3, v13, v0
	v_mul_u32_u24_sdwa v0, v14, v8 dst_sel:DWORD dst_unused:UNUSED_PAD src0_sel:WORD_0 src1_sel:DWORD
	v_sub_nc_u16 v43, v26, v9
	v_mul_lo_u16 v9, v42, 3
	v_lshrrev_b32_e32 v0, 17, v0
	v_mad_u16 v2, v2, 9, v3
	v_mad_u16 v41, v41, 9, v43
	v_sub_nc_u16 v44, v27, v9
	v_lshlrev_b16 v9, 1, v43
	v_mul_lo_u16 v1, v0, 3
	v_lshlrev_b32_sdwa v159, v25, v2 dst_sel:DWORD dst_unused:UNUSED_PAD src0_sel:DWORD src1_sel:WORD_0
	v_lshlrev_b32_sdwa v157, v25, v41 dst_sel:DWORD dst_unused:UNUSED_PAD src0_sel:DWORD src1_sel:WORD_0
	;; [unrolled: 1-line block ×3, first 2 shown]
	v_lshlrev_b16 v9, 1, v44
	v_sub_nc_u16 v1, v14, v1
	v_lshlrev_b32_sdwa v14, v25, v9 dst_sel:DWORD dst_unused:UNUSED_PAD src0_sel:DWORD src1_sel:WORD_0
	v_lshlrev_b32_e32 v9, 3, v12
	v_mad_u16 v0, v0, 9, v1
	global_load_dwordx2 v[79:80], v9, s[2:3]
	v_lshlrev_b32_e32 v9, 3, v40
	v_lshlrev_b32_sdwa v160, v25, v0 dst_sel:DWORD dst_unused:UNUSED_PAD src0_sel:DWORD src1_sel:WORD_0
	global_load_dwordx2 v[75:76], v9, s[2:3]
	ds_read2_b32 v[9:10], v132 offset0:56 offset1:164
	s_clause 0x1
	global_load_dwordx2 v[73:74], v13, s[2:3]
	global_load_dwordx2 v[69:70], v14, s[2:3]
	s_waitcnt lgkmcnt(0)
	v_lshrrev_b32_e32 v18, 16, v9
	v_lshrrev_b32_e32 v14, 16, v10
	s_waitcnt vmcnt(3)
	v_mul_f16_sdwa v13, v18, v79 dst_sel:DWORD dst_unused:UNUSED_PAD src0_sel:DWORD src1_sel:WORD_1
	v_mul_f16_sdwa v22, v9, v79 dst_sel:DWORD dst_unused:UNUSED_PAD src0_sel:DWORD src1_sel:WORD_1
	v_fma_f16 v13, v9, v79, -v13
	s_waitcnt vmcnt(2)
	v_mul_f16_sdwa v19, v14, v75 dst_sel:DWORD dst_unused:UNUSED_PAD src0_sel:DWORD src1_sel:WORD_1
	v_mul_f16_sdwa v23, v10, v75 dst_sel:DWORD dst_unused:UNUSED_PAD src0_sel:DWORD src1_sel:WORD_1
	v_fmac_f16_e32 v22, v18, v79
	v_fma_f16 v19, v10, v75, -v19
	ds_read2_b32 v[9:10], v131 offset0:112 offset1:220
	v_fmac_f16_e32 v23, v14, v75
	s_waitcnt lgkmcnt(0)
	v_lshrrev_b32_e32 v28, 16, v9
	v_lshrrev_b32_e32 v30, 16, v10
	v_mul_f16_sdwa v46, v10, v76 dst_sel:DWORD dst_unused:UNUSED_PAD src0_sel:DWORD src1_sel:WORD_1
	v_mul_f16_sdwa v29, v28, v80 dst_sel:DWORD dst_unused:UNUSED_PAD src0_sel:DWORD src1_sel:WORD_1
	v_mul_f16_sdwa v31, v30, v76 dst_sel:DWORD dst_unused:UNUSED_PAD src0_sel:DWORD src1_sel:WORD_1
	v_fmac_f16_e32 v46, v30, v76
	v_fma_f16 v29, v9, v80, -v29
	v_fma_f16 v45, v10, v76, -v31
	v_mul_f16_sdwa v31, v9, v80 dst_sel:DWORD dst_unused:UNUSED_PAD src0_sel:DWORD src1_sel:WORD_1
	v_mul_u32_u24_sdwa v9, v5, v8 dst_sel:DWORD dst_unused:UNUSED_PAD src0_sel:WORD_0 src1_sel:DWORD
	v_sub_f16_e32 v57, v13, v29
	v_add_f16_e32 v14, v19, v45
	v_fmac_f16_e32 v31, v28, v80
	v_lshrrev_b32_e32 v47, 17, v9
	v_sub_f16_e32 v58, v22, v31
	v_mul_lo_u16 v9, v47, 3
	v_sub_nc_u16 v5, v5, v9
	ds_read2_b32 v[9:10], v130 offset1:108
	s_waitcnt lgkmcnt(0)
	v_lshrrev_b32_e32 v18, 16, v10
	v_add_f16_e32 v48, v10, v19
	v_fmac_f16_e32 v10, -0.5, v14
	v_add_f16_e32 v14, v23, v46
	v_lshrrev_b32_e32 v54, 16, v9
	v_add_f16_e32 v49, v18, v23
	v_fmac_f16_e32 v18, -0.5, v14
	v_sub_f16_e32 v14, v23, v46
	v_add_f16_e32 v46, v49, v46
	v_fmamk_f16 v50, v14, 0x3aee, v10
	v_fmac_f16_e32 v10, 0xbaee, v14
	v_sub_f16_e32 v14, v19, v45
	v_add_f16_e32 v45, v48, v45
	v_fmamk_f16 v51, v14, 0xbaee, v18
	v_fmac_f16_e32 v18, 0x3aee, v14
	v_add_f16_e32 v14, v13, v29
	v_pack_b32_f16 v15, v45, v46
	v_pack_b32_f16 v45, v50, v51
	;; [unrolled: 1-line block ×3, first 2 shown]
	v_mul_u32_u24_sdwa v10, v7, v8 dst_sel:DWORD dst_unused:UNUSED_PAD src0_sel:WORD_0 src1_sel:DWORD
	v_fma_f16 v52, -0.5, v14, v9
	v_add_f16_e32 v9, v9, v13
	v_lshrrev_b32_e32 v55, 17, v10
	v_mul_lo_u16 v10, v55, 3
	v_sub_nc_u16 v56, v7, v10
	v_add_f16_e32 v7, v9, v29
	v_add_f16_e32 v9, v54, v22
	;; [unrolled: 1-line block ×4, first 2 shown]
	v_fmac_f16_e32 v54, -0.5, v10
	v_mul_u32_u24_sdwa v10, v11, v59 dst_sel:DWORD dst_unused:UNUSED_PAD src0_sel:WORD_0 src1_sel:DWORD
	v_lshlrev_b16 v11, 1, v5
	v_pack_b32_f16 v60, v7, v9
	v_fmamk_f16 v7, v58, 0x3aee, v52
	v_fmamk_f16 v9, v57, 0xbaee, v54
	v_add_lshl_u32 v153, v10, v12, 2
	v_lshlrev_b16 v10, 1, v1
	v_lshlrev_b16 v12, 1, v56
	v_lshlrev_b32_sdwa v11, v25, v11 dst_sel:DWORD dst_unused:UNUSED_PAD src0_sel:DWORD src1_sel:WORD_0
	v_pack_b32_f16 v61, v7, v9
	v_mul_u32_u24_sdwa v7, v16, v8 dst_sel:DWORD dst_unused:UNUSED_PAD src0_sel:WORD_0 src1_sel:DWORD
	v_lshlrev_b16 v8, 1, v6
	v_lshlrev_b16 v9, 1, v3
	v_lshlrev_b32_sdwa v10, v25, v10 dst_sel:DWORD dst_unused:UNUSED_PAD src0_sel:DWORD src1_sel:WORD_0
	v_lshlrev_b32_sdwa v12, v25, v12 dst_sel:DWORD dst_unused:UNUSED_PAD src0_sel:DWORD src1_sel:WORD_0
	v_lshrrev_b32_e32 v62, 17, v7
	v_lshlrev_b32_sdwa v8, v25, v8 dst_sel:DWORD dst_unused:UNUSED_PAD src0_sel:DWORD src1_sel:WORD_0
	v_lshlrev_b32_sdwa v9, v25, v9 dst_sel:DWORD dst_unused:UNUSED_PAD src0_sel:DWORD src1_sel:WORD_0
	v_fmac_f16_e32 v52, 0xbaee, v58
	v_fmac_f16_e32 v54, 0x3aee, v57
	v_mul_lo_u16 v7, v62, 3
	v_pack_b32_f16 v40, v52, v54
	v_sub_nc_u16 v63, v16, v7
	v_lshlrev_b16 v7, 1, v63
	v_lshlrev_b32_sdwa v7, v25, v7 dst_sel:DWORD dst_unused:UNUSED_PAD src0_sel:DWORD src1_sel:WORD_0
	s_clause 0x5
	global_load_dwordx2 v[85:86], v7, s[2:3]
	global_load_dwordx2 v[83:84], v8, s[2:3]
	;; [unrolled: 1-line block ×6, first 2 shown]
	ds_read2_b32 v[7:8], v124 offset0:88 offset1:196
	ds_read2_b32 v[9:10], v121 offset0:16 offset1:124
	;; [unrolled: 1-line block ×12, first 2 shown]
	s_waitcnt vmcnt(0) lgkmcnt(0)
	s_barrier
	buffer_gl0_inv
	ds_write2_b32 v153, v60, v61 offset1:3
	ds_write_b32 v153, v40 offset:24
	ds_write2_b32 v154, v15, v45 offset1:3
	ds_write_b32 v154, v53 offset:24
	v_lshrrev_b32_e32 v15, 16, v9
	v_lshrrev_b32_e32 v45, 16, v10
	;; [unrolled: 1-line block ×4, first 2 shown]
	v_mul_f16_sdwa v40, v15, v73 dst_sel:DWORD dst_unused:UNUSED_PAD src0_sel:DWORD src1_sel:WORD_1
	v_mul_f16_sdwa v46, v45, v69 dst_sel:DWORD dst_unused:UNUSED_PAD src0_sel:DWORD src1_sel:WORD_1
	;; [unrolled: 1-line block ×4, first 2 shown]
	v_lshrrev_b32_e32 v2, 16, v31
	v_fma_f16 v40, v9, v73, -v40
	v_fma_f16 v46, v10, v69, -v46
	v_mul_f16_sdwa v9, v9, v73 dst_sel:DWORD dst_unused:UNUSED_PAD src0_sel:DWORD src1_sel:WORD_1
	v_mul_f16_sdwa v10, v10, v69 dst_sel:DWORD dst_unused:UNUSED_PAD src0_sel:DWORD src1_sel:WORD_1
	v_fma_f16 v51, v12, v70, -v51
	v_mul_f16_sdwa v12, v12, v70 dst_sel:DWORD dst_unused:UNUSED_PAD src0_sel:DWORD src1_sel:WORD_1
	v_fma_f16 v49, v11, v74, -v49
	v_mul_f16_sdwa v11, v11, v74 dst_sel:DWORD dst_unused:UNUSED_PAD src0_sel:DWORD src1_sel:WORD_1
	v_fmac_f16_e32 v9, v15, v73
	v_fmac_f16_e32 v10, v45, v69
	;; [unrolled: 1-line block ×3, first 2 shown]
	v_add_f16_e32 v15, v46, v51
	v_lshrrev_b32_e32 v45, 16, v8
	v_fmac_f16_e32 v11, v48, v74
	v_add_f16_e32 v48, v8, v46
	v_fmac_f16_e32 v8, -0.5, v15
	v_add_f16_e32 v15, v10, v12
	v_add_f16_e32 v50, v45, v10
	v_sub_f16_e32 v10, v10, v12
	v_add_f16_e32 v54, v9, v11
	v_fmac_f16_e32 v45, -0.5, v15
	v_fmamk_f16 v15, v10, 0x3aee, v8
	v_fmac_f16_e32 v8, 0xbaee, v10
	v_sub_f16_e32 v10, v46, v51
	v_fmamk_f16 v46, v10, 0xbaee, v45
	v_fmac_f16_e32 v45, 0x3aee, v10
	v_add_f16_e32 v10, v40, v49
	v_pack_b32_f16 v8, v8, v45
	v_lshrrev_b32_e32 v45, 16, v7
	v_fma_f16 v10, -0.5, v10, v7
	v_add_f16_e32 v7, v7, v40
	v_sub_f16_e32 v40, v40, v49
	v_add_f16_e32 v52, v45, v9
	v_sub_f16_e32 v9, v9, v11
	v_add_f16_e32 v7, v7, v49
	v_fmac_f16_e32 v45, -0.5, v54
	v_add_f16_e32 v11, v52, v11
	v_fmamk_f16 v43, v40, 0xbaee, v45
	v_fmac_f16_e32 v45, 0x3aee, v40
	v_pack_b32_f16 v7, v7, v11
	v_fmamk_f16 v11, v9, 0x3aee, v10
	v_fmac_f16_e32 v10, 0xbaee, v9
	v_add_f16_e32 v9, v50, v12
	v_lshrrev_b32_e32 v12, 16, v13
	v_pack_b32_f16 v11, v11, v43
	v_pack_b32_f16 v10, v10, v45
	ds_write2_b32 v157, v7, v11 offset1:3
	v_add_f16_e32 v7, v48, v51
	v_mad_u16 v11, v42, 9, v44
	ds_write_b32 v157, v10 offset:24
	v_lshrrev_b32_e32 v10, 16, v22
	v_pack_b32_f16 v7, v7, v9
	v_pack_b32_f16 v9, v15, v46
	v_lshlrev_b32_sdwa v155, v25, v11 dst_sel:DWORD dst_unused:UNUSED_PAD src0_sel:DWORD src1_sel:WORD_0
	ds_write2_b32 v155, v7, v9 offset1:3
	v_lshrrev_b32_e32 v7, 16, v18
	ds_write_b32 v155, v8 offset:24
	v_mad_u16 v8, v62, 9, v63
	v_lshlrev_b32_sdwa v156, v25, v8 dst_sel:DWORD dst_unused:UNUSED_PAD src0_sel:DWORD src1_sel:WORD_0
	v_lshrrev_b32_e32 v8, 16, v19
	v_mul_f16_sdwa v9, v18, v85 dst_sel:DWORD dst_unused:UNUSED_PAD src0_sel:DWORD src1_sel:WORD_1
	v_mul_f16_sdwa v11, v22, v86 dst_sel:DWORD dst_unused:UNUSED_PAD src0_sel:DWORD src1_sel:WORD_1
	v_fmac_f16_e32 v9, v7, v85
	v_mul_f16_sdwa v7, v7, v85 dst_sel:DWORD dst_unused:UNUSED_PAD src0_sel:DWORD src1_sel:WORD_1
	v_fmac_f16_e32 v11, v10, v86
	v_mul_f16_sdwa v10, v10, v86 dst_sel:DWORD dst_unused:UNUSED_PAD src0_sel:DWORD src1_sel:WORD_1
	v_add_f16_e32 v15, v12, v9
	v_fma_f16 v7, v18, v85, -v7
	v_add_f16_e32 v40, v9, v11
	v_sub_f16_e32 v9, v9, v11
	v_fma_f16 v10, v22, v86, -v10
	v_add_f16_e32 v11, v15, v11
	v_add_f16_e32 v15, v13, v7
	v_fmac_f16_e32 v12, -0.5, v40
	v_add_f16_e32 v18, v7, v10
	v_sub_f16_e32 v7, v7, v10
	v_add_f16_e32 v15, v15, v10
	v_pack_b32_f16 v10, v15, v11
	v_fma_f16 v11, -0.5, v18, v13
	v_fmamk_f16 v15, v7, 0xbaee, v12
	v_fmac_f16_e32 v12, 0x3aee, v7
	v_fmamk_f16 v13, v9, 0x3aee, v11
	v_fmac_f16_e32 v11, 0xbaee, v9
	v_pack_b32_f16 v13, v13, v15
	v_lshrrev_b32_e32 v15, 16, v23
	v_pack_b32_f16 v11, v11, v12
	ds_write2_b32 v156, v10, v13 offset1:3
	v_mul_f16_sdwa v10, v8, v83 dst_sel:DWORD dst_unused:UNUSED_PAD src0_sel:DWORD src1_sel:WORD_1
	v_mul_f16_sdwa v18, v15, v84 dst_sel:DWORD dst_unused:UNUSED_PAD src0_sel:DWORD src1_sel:WORD_1
	;; [unrolled: 1-line block ×3, first 2 shown]
	ds_write_b32 v156, v11 offset:24
	v_fma_f16 v10, v19, v83, -v10
	v_fma_f16 v18, v23, v84, -v18
	v_mul_f16_sdwa v19, v23, v84 dst_sel:DWORD dst_unused:UNUSED_PAD src0_sel:DWORD src1_sel:WORD_1
	v_fmac_f16_e32 v13, v8, v83
	v_lshrrev_b32_e32 v8, 16, v14
	v_add_f16_e32 v9, v14, v10
	v_add_f16_e32 v7, v10, v18
	v_fmac_f16_e32 v19, v15, v84
	v_sub_f16_e32 v10, v10, v18
	v_add_f16_e32 v9, v9, v18
	v_fmac_f16_e32 v14, -0.5, v7
	v_add_f16_e32 v7, v8, v13
	v_add_f16_e32 v15, v13, v19
	v_sub_f16_e32 v13, v13, v19
	v_add_f16_e32 v7, v7, v19
	v_fmac_f16_e32 v8, -0.5, v15
	v_pack_b32_f16 v6, v9, v7
	v_fmamk_f16 v7, v13, 0x3aee, v14
	v_fmamk_f16 v9, v10, 0xbaee, v8
	v_fmac_f16_e32 v14, 0xbaee, v13
	v_fmac_f16_e32 v8, 0x3aee, v10
	v_lshrrev_b32_e32 v10, 16, v28
	v_pack_b32_f16 v7, v7, v9
	v_mul_f16_sdwa v9, v32, v82 dst_sel:DWORD dst_unused:UNUSED_PAD src0_sel:DWORD src1_sel:WORD_1
	v_pack_b32_f16 v4, v14, v8
	v_lshrrev_b32_e32 v8, 16, v32
	ds_write2_b32 v158, v6, v7 offset1:3
	v_lshrrev_b32_e32 v6, 16, v30
	v_mul_f16_sdwa v7, v30, v81 dst_sel:DWORD dst_unused:UNUSED_PAD src0_sel:DWORD src1_sel:WORD_1
	v_fmac_f16_e32 v9, v8, v82
	v_mul_f16_sdwa v8, v8, v82 dst_sel:DWORD dst_unused:UNUSED_PAD src0_sel:DWORD src1_sel:WORD_1
	ds_write_b32 v158, v4 offset:24
	v_fmac_f16_e32 v7, v6, v81
	v_mul_f16_sdwa v6, v6, v81 dst_sel:DWORD dst_unused:UNUSED_PAD src0_sel:DWORD src1_sel:WORD_1
	v_fma_f16 v8, v32, v82, -v8
	v_add_f16_e32 v11, v10, v7
	v_add_f16_e32 v12, v7, v9
	v_fma_f16 v6, v30, v81, -v6
	v_sub_f16_e32 v7, v7, v9
	v_add_f16_e32 v9, v11, v9
	v_fmac_f16_e32 v10, -0.5, v12
	v_add_f16_e32 v11, v28, v6
	v_add_f16_e32 v12, v6, v8
	v_sub_f16_e32 v6, v6, v8
	v_add_f16_e32 v11, v11, v8
	v_fma_f16 v4, -0.5, v12, v28
	v_mul_f16_sdwa v12, v33, v78 dst_sel:DWORD dst_unused:UNUSED_PAD src0_sel:DWORD src1_sel:WORD_1
	v_pack_b32_f16 v3, v11, v9
	v_fmamk_f16 v8, v7, 0x3aee, v4
	v_fmamk_f16 v9, v6, 0xbaee, v10
	v_fmac_f16_e32 v10, 0x3aee, v6
	v_lshrrev_b32_e32 v6, 16, v29
	v_fmac_f16_e32 v4, 0xbaee, v7
	v_pack_b32_f16 v8, v8, v9
	v_lshrrev_b32_e32 v9, 16, v33
	v_pack_b32_f16 v4, v4, v10
	ds_write2_b32 v159, v3, v8 offset1:3
	v_mul_f16_sdwa v3, v2, v77 dst_sel:DWORD dst_unused:UNUSED_PAD src0_sel:DWORD src1_sel:WORD_1
	v_mul_f16_sdwa v11, v9, v78 dst_sel:DWORD dst_unused:UNUSED_PAD src0_sel:DWORD src1_sel:WORD_1
	;; [unrolled: 1-line block ×3, first 2 shown]
	v_fmac_f16_e32 v12, v9, v78
	ds_write_b32 v159, v4 offset:24
	v_fma_f16 v3, v31, v77, -v3
	v_fma_f16 v11, v33, v78, -v11
	v_fmac_f16_e32 v8, v2, v77
	v_add_f16_e32 v7, v29, v3
	v_add_f16_e32 v2, v3, v11
	;; [unrolled: 1-line block ×3, first 2 shown]
	v_sub_f16_e32 v3, v3, v11
	v_add_f16_e32 v7, v7, v11
	v_fmac_f16_e32 v29, -0.5, v2
	v_add_f16_e32 v2, v6, v8
	v_sub_f16_e32 v8, v8, v12
	v_fmac_f16_e32 v6, -0.5, v9
	v_mul_f16_sdwa v9, v39, v68 dst_sel:DWORD dst_unused:UNUSED_PAD src0_sel:DWORD src1_sel:WORD_1
	v_add_f16_e32 v2, v2, v12
	v_fmamk_f16 v4, v3, 0xbaee, v6
	v_fmac_f16_e32 v6, 0x3aee, v3
	v_lshrrev_b32_e32 v3, 16, v38
	v_pack_b32_f16 v1, v7, v2
	v_fmamk_f16 v2, v8, 0x3aee, v29
	v_fmac_f16_e32 v29, 0xbaee, v8
	v_pack_b32_f16 v2, v2, v4
	v_pack_b32_f16 v0, v29, v6
	v_mul_f16_sdwa v4, v38, v72 dst_sel:DWORD dst_unused:UNUSED_PAD src0_sel:DWORD src1_sel:WORD_1
	v_lshrrev_b32_e32 v6, 16, v34
	ds_write2_b32 v160, v1, v2 offset1:3
	v_lshrrev_b32_e32 v1, 16, v36
	v_mul_f16_sdwa v2, v36, v71 dst_sel:DWORD dst_unused:UNUSED_PAD src0_sel:DWORD src1_sel:WORD_1
	v_fmac_f16_e32 v4, v3, v72
	v_mul_f16_sdwa v3, v3, v72 dst_sel:DWORD dst_unused:UNUSED_PAD src0_sel:DWORD src1_sel:WORD_1
	ds_write_b32 v160, v0 offset:24
	v_mad_u16 v0, v47, 9, v5
	v_fmac_f16_e32 v2, v1, v71
	v_mul_f16_sdwa v1, v1, v71 dst_sel:DWORD dst_unused:UNUSED_PAD src0_sel:DWORD src1_sel:WORD_1
	v_fma_f16 v3, v38, v72, -v3
	v_lshlrev_b32_sdwa v143, v25, v0 dst_sel:DWORD dst_unused:UNUSED_PAD src0_sel:DWORD src1_sel:WORD_0
	v_add_f16_e32 v7, v6, v2
	v_fma_f16 v1, v36, v71, -v1
	v_add_f16_e32 v8, v2, v4
	v_sub_f16_e32 v2, v2, v4
	v_lshrrev_b32_e32 v0, 16, v37
	v_add_f16_e32 v4, v7, v4
	v_add_f16_e32 v7, v34, v1
	v_fmac_f16_e32 v6, -0.5, v8
	v_add_f16_e32 v8, v1, v3
	v_sub_f16_e32 v1, v1, v3
	v_add_f16_e32 v7, v7, v3
	v_pack_b32_f16 v3, v7, v4
	v_fma_f16 v4, -0.5, v8, v34
	v_fmamk_f16 v7, v1, 0xbaee, v6
	v_fmac_f16_e32 v6, 0x3aee, v1
	v_fmamk_f16 v5, v2, 0x3aee, v4
	v_fmac_f16_e32 v4, 0xbaee, v2
	v_pack_b32_f16 v5, v5, v7
	v_lshrrev_b32_e32 v7, 16, v39
	v_pack_b32_f16 v2, v4, v6
	ds_write2_b32 v143, v3, v5 offset1:3
	v_mul_f16_sdwa v3, v0, v67 dst_sel:DWORD dst_unused:UNUSED_PAD src0_sel:DWORD src1_sel:WORD_1
	v_mul_f16_sdwa v8, v7, v68 dst_sel:DWORD dst_unused:UNUSED_PAD src0_sel:DWORD src1_sel:WORD_1
	;; [unrolled: 1-line block ×3, first 2 shown]
	v_fmac_f16_e32 v9, v7, v68
	v_lshrrev_b32_e32 v7, 16, v35
	v_fma_f16 v3, v37, v67, -v3
	v_fma_f16 v8, v39, v68, -v8
	v_fmac_f16_e32 v5, v0, v67
	ds_write_b32 v143, v2 offset:24
	v_add_f16_e32 v10, v35, v3
	v_add_f16_e32 v0, v3, v8
	;; [unrolled: 1-line block ×3, first 2 shown]
	v_fmac_f16_e32 v35, -0.5, v0
	v_sub_f16_e32 v0, v5, v9
	v_fmamk_f16 v11, v0, 0x3aee, v35
	v_fmac_f16_e32 v35, 0xbaee, v0
	v_add_f16_e32 v0, v5, v9
	v_add_f16_e32 v5, v7, v5
	v_fmac_f16_e32 v7, -0.5, v0
	v_sub_f16_e32 v0, v3, v8
	v_add_f16_e32 v4, v5, v9
	v_mad_u16 v5, v55, 9, v56
	v_fmamk_f16 v3, v0, 0xbaee, v7
	v_fmac_f16_e32 v7, 0x3aee, v0
	v_pack_b32_f16 v1, v1, v4
	v_pack_b32_f16 v2, v11, v3
	v_lshlrev_b32_sdwa v3, v25, v5 dst_sel:DWORD dst_unused:UNUSED_PAD src0_sel:DWORD src1_sel:WORD_0
	v_pack_b32_f16 v0, v35, v7
	ds_write2_b32 v3, v1, v2 offset1:3
	ds_write_b32 v3, v0 offset:24
	v_mov_b32_e32 v0, 0xe38f
	s_waitcnt lgkmcnt(0)
	s_barrier
	buffer_gl0_inv
	ds_read2_b32 v[8:9], v92 offset0:96 offset1:204
	v_mul_u32_u24_sdwa v0, v26, v0 dst_sel:DWORD dst_unused:UNUSED_PAD src0_sel:WORD_0 src1_sel:DWORD
	v_lshrrev_b32_e32 v18, 19, v0
	v_mul_lo_u16 v0, v18, 9
	v_sub_nc_u16 v19, v26, v0
	s_waitcnt lgkmcnt(0)
	v_lshrrev_b32_e32 v10, 16, v8
	v_mul_lo_u16 v0, v19, 36
	v_and_b32_e32 v0, 0xffff, v0
	v_add_co_u32 v0, s0, s2, v0
	v_add_co_ci_u32_e64 v1, null, s3, 0, s0
	s_clause 0x2
	global_load_dword v135, v[0:1], off offset:56
	global_load_dwordx4 v[4:7], v[0:1], off offset:24
	global_load_dwordx4 v[87:90], v[0:1], off offset:40
	ds_read2_b32 v[12:13], v111 offset0:104 offset1:212
	ds_read2_b32 v[14:15], v131 offset0:112 offset1:220
	;; [unrolled: 1-line block ×8, first 2 shown]
	s_waitcnt lgkmcnt(7)
	v_lshrrev_b32_e32 v185, 16, v13
	s_waitcnt lgkmcnt(6)
	v_lshrrev_b32_e32 v187, 16, v15
	;; [unrolled: 2-line block ×8, first 2 shown]
	v_lshrrev_b32_e32 v194, 16, v54
	v_lshrrev_b32_e32 v203, 16, v165
	s_waitcnt vmcnt(2)
	v_mul_f16_sdwa v44, v182, v135 dst_sel:DWORD dst_unused:UNUSED_PAD src0_sel:DWORD src1_sel:WORD_1
	s_waitcnt vmcnt(1)
	v_mul_f16_sdwa v22, v8, v5 dst_sel:DWORD dst_unused:UNUSED_PAD src0_sel:DWORD src1_sel:WORD_1
	v_mul_f16_sdwa v30, v10, v5 dst_sel:DWORD dst_unused:UNUSED_PAD src0_sel:DWORD src1_sel:WORD_1
	;; [unrolled: 1-line block ×3, first 2 shown]
	s_waitcnt vmcnt(0)
	v_mul_f16_sdwa v28, v14, v88 dst_sel:DWORD dst_unused:UNUSED_PAD src0_sel:DWORD src1_sel:WORD_1
	v_mul_f16_sdwa v41, v166, v6 dst_sel:DWORD dst_unused:UNUSED_PAD src0_sel:DWORD src1_sel:WORD_1
	v_fmac_f16_e32 v22, v10, v5
	v_lshrrev_b32_e32 v10, 16, v12
	v_fma_f16 v8, v8, v5, -v30
	v_mul_f16_sdwa v42, v178, v87 dst_sel:DWORD dst_unused:UNUSED_PAD src0_sel:DWORD src1_sel:WORD_1
	v_mul_f16_sdwa v43, v180, v89 dst_sel:DWORD dst_unused:UNUSED_PAD src0_sel:DWORD src1_sel:WORD_1
	v_fmac_f16_e32 v41, v35, v6
	v_fmac_f16_e32 v23, v10, v7
	v_mul_f16_sdwa v31, v10, v7 dst_sel:DWORD dst_unused:UNUSED_PAD src0_sel:DWORD src1_sel:WORD_1
	v_lshrrev_b32_e32 v10, 16, v14
	v_add_f16_e32 v40, v52, v8
	v_mul_f16_sdwa v35, v35, v6 dst_sel:DWORD dst_unused:UNUSED_PAD src0_sel:DWORD src1_sel:WORD_1
	v_fmac_f16_e32 v42, v36, v87
	v_fma_f16 v12, v12, v7, -v31
	v_fmac_f16_e32 v28, v10, v88
	v_mul_f16_sdwa v32, v10, v88 dst_sel:DWORD dst_unused:UNUSED_PAD src0_sel:DWORD src1_sel:WORD_1
	ds_read2_b32 v[10:11], v93 offset0:120 offset1:228
	v_lshrrev_b32_e32 v31, 16, v52
	v_mul_f16_sdwa v36, v36, v87 dst_sel:DWORD dst_unused:UNUSED_PAD src0_sel:DWORD src1_sel:WORD_1
	v_fmac_f16_e32 v43, v37, v89
	v_fma_f16 v14, v14, v88, -v32
	v_mul_f16_sdwa v37, v37, v89 dst_sel:DWORD dst_unused:UNUSED_PAD src0_sel:DWORD src1_sel:WORD_1
	v_fmac_f16_e32 v44, v38, v135
	v_mul_f16_sdwa v38, v38, v135 dst_sel:DWORD dst_unused:UNUSED_PAD src0_sel:DWORD src1_sel:WORD_1
	v_fma_f16 v46, v178, v87, -v36
	v_add_f16_e32 v30, v12, v14
	v_fma_f16 v45, v180, v89, -v37
	v_fma_f16 v48, v166, v6, -v35
	;; [unrolled: 1-line block ×3, first 2 shown]
	v_lshrrev_b16 v178, 9, v17
	v_fma_f16 v30, -0.5, v30, v52
	v_add_f16_e32 v35, v46, v45
	v_sub_f16_e32 v142, v42, v43
	v_add_f16_e32 v36, v48, v47
	v_sub_f16_e32 v37, v45, v47
	v_mul_lo_u16 v17, v178, 9
	s_waitcnt lgkmcnt(0)
	v_lshrrev_b32_e32 v33, 16, v10
	v_mul_f16_sdwa v29, v10, v90 dst_sel:DWORD dst_unused:UNUSED_PAD src0_sel:DWORD src1_sel:WORD_1
	v_sub_f16_e32 v167, v46, v45
	v_sub_f16_e32 v171, v41, v44
	;; [unrolled: 1-line block ×4, first 2 shown]
	v_fmac_f16_e32 v29, v33, v90
	v_mul_f16_sdwa v33, v33, v90 dst_sel:DWORD dst_unused:UNUSED_PAD src0_sel:DWORD src1_sel:WORD_1
	v_lshrrev_b32_e32 v166, 16, v9
	v_lshrrev_b32_e32 v192, 16, v11
	v_sub_f16_e32 v169, v22, v29
	v_fma_f16 v10, v10, v90, -v33
	v_add_f16_e32 v32, v8, v10
	v_sub_f16_e32 v33, v14, v10
	v_fmac_f16_e32 v52, -0.5, v32
	v_sub_f16_e32 v32, v12, v8
	v_add_f16_e32 v33, v32, v33
	v_mul_f16_sdwa v32, v55, v4 dst_sel:DWORD dst_unused:UNUSED_PAD src0_sel:DWORD src1_sel:WORD_1
	v_fmac_f16_e32 v32, v34, v4
	v_mul_f16_sdwa v34, v34, v4 dst_sel:DWORD dst_unused:UNUSED_PAD src0_sel:DWORD src1_sel:WORD_1
	v_add_f16_e32 v174, v32, v41
	v_fma_f16 v34, v55, v4, -v34
	v_fma_f16 v35, -0.5, v35, v34
	v_add_f16_e32 v164, v34, v48
	v_fmac_f16_e32 v34, -0.5, v36
	v_sub_f16_e32 v36, v46, v48
	v_fmamk_f16 v172, v142, 0xbb9c, v34
	v_add_f16_e32 v50, v36, v37
	v_add_f16_e32 v36, v42, v43
	v_sub_f16_e32 v37, v43, v44
	v_fmac_f16_e32 v34, 0x3b9c, v142
	v_fmac_f16_e32 v172, 0x38b4, v171
	v_fma_f16 v49, -0.5, v36, v32
	v_add_f16_e32 v36, v41, v44
	v_fmac_f16_e32 v34, 0xb8b4, v171
	v_fmac_f16_e32 v172, 0x34f2, v50
	v_fmac_f16_e32 v32, -0.5, v36
	v_sub_f16_e32 v36, v42, v41
	v_fmac_f16_e32 v34, 0x34f2, v50
	v_fmamk_f16 v173, v167, 0x3b9c, v32
	v_add_f16_e32 v168, v36, v37
	v_sub_nc_u16 v36, v24, v17
	v_fmac_f16_e32 v32, 0xbb9c, v167
	v_fmamk_f16 v17, v51, 0xbb9c, v52
	v_fmac_f16_e32 v52, 0x3b9c, v51
	v_mul_f16_e32 v55, 0xb4f2, v34
	v_and_b32_e32 v180, 0xff, v36
	v_fmac_f16_e32 v32, 0x38b4, v170
	v_fmac_f16_e32 v173, 0xb8b4, v170
	;; [unrolled: 1-line block ×4, first 2 shown]
	v_mad_u64_u32 v[60:61], null, v180, 36, s[2:3]
	s_clause 0x1
	global_load_dwordx4 v[56:59], v[60:61], off offset:24
	global_load_dwordx4 v[36:39], v[60:61], off offset:40
	v_fmac_f16_e32 v32, 0x34f2, v168
	v_fmac_f16_e32 v52, 0x34f2, v33
	global_load_dword v189, v[60:61], off offset:56
	v_fmac_f16_e32 v173, 0x34f2, v168
	v_fmac_f16_e32 v17, 0x34f2, v33
	;; [unrolled: 1-line block ×3, first 2 shown]
	v_add_f16_e32 v176, v52, v55
	v_sub_f16_e32 v175, v52, v55
	s_waitcnt vmcnt(2)
	v_mul_f16_sdwa v52, v166, v58 dst_sel:DWORD dst_unused:UNUSED_PAD src0_sel:DWORD src1_sel:WORD_1
	v_mul_f16_sdwa v62, v161, v56 dst_sel:DWORD dst_unused:UNUSED_PAD src0_sel:DWORD src1_sel:WORD_1
	;; [unrolled: 1-line block ×3, first 2 shown]
	s_waitcnt vmcnt(0)
	v_mul_f16_sdwa v55, v192, v189 dst_sel:DWORD dst_unused:UNUSED_PAD src0_sel:DWORD src1_sel:WORD_1
	v_fma_f16 v184, v9, v58, -v52
	v_mul_f16_sdwa v52, v185, v36 dst_sel:DWORD dst_unused:UNUSED_PAD src0_sel:DWORD src1_sel:WORD_1
	v_fma_f16 v182, v53, v56, -v62
	v_fmac_f16_e32 v183, v161, v56
	v_fma_f16 v193, v11, v189, -v55
	v_mul_f16_sdwa v9, v9, v58 dst_sel:DWORD dst_unused:UNUSED_PAD src0_sel:DWORD src1_sel:WORD_1
	v_fma_f16 v186, v13, v36, -v52
	v_mul_f16_sdwa v52, v187, v38 dst_sel:DWORD dst_unused:UNUSED_PAD src0_sel:DWORD src1_sel:WORD_1
	v_mul_f16_sdwa v13, v13, v36 dst_sel:DWORD dst_unused:UNUSED_PAD src0_sel:DWORD src1_sel:WORD_1
	;; [unrolled: 1-line block ×3, first 2 shown]
	v_fmac_f16_e32 v9, v166, v58
	v_sub_f16_e32 v244, v184, v193
	v_fma_f16 v188, v15, v38, -v52
	v_mul_lo_u16 v52, v21, 57
	v_fmac_f16_e32 v13, v185, v36
	v_lshrrev_b32_e32 v185, 16, v177
	v_mul_f16_sdwa v15, v15, v38 dst_sel:DWORD dst_unused:UNUSED_PAD src0_sel:DWORD src1_sel:WORD_1
	v_fmac_f16_e32 v11, v192, v189
	v_lshrrev_b16 v190, 9, v52
	v_sub_f16_e32 v240, v193, v188
	v_sub_f16_e32 v245, v186, v188
	v_fmac_f16_e32 v15, v187, v38
	v_sub_f16_e32 v246, v9, v11
	v_mul_lo_u16 v52, v190, 9
	v_add_f16_e32 v251, v183, v9
	v_mul_lo_u16 v21, 0xb7, v21
	v_sub_f16_e32 v241, v11, v15
	v_sub_f16_e32 v248, v13, v15
	v_sub_nc_u16 v52, v20, v52
	v_add_f16_e32 v251, v251, v13
	v_and_b32_e32 v191, 0xff, v52
	v_add_f16_e32 v251, v251, v15
	v_mad_u64_u32 v[52:53], null, v191, 36, s[2:3]
	v_add_f16_e32 v251, v251, v11
	global_load_dwordx4 v[60:63], v[52:53], off offset:24
	s_waitcnt vmcnt(0)
	v_mul_f16_sdwa v55, v194, v60 dst_sel:DWORD dst_unused:UNUSED_PAD src0_sel:DWORD src1_sel:WORD_1
	v_mul_f16_sdwa v196, v54, v60 dst_sel:DWORD dst_unused:UNUSED_PAD src0_sel:DWORD src1_sel:WORD_1
	;; [unrolled: 1-line block ×3, first 2 shown]
	v_fma_f16 v195, v54, v60, -v55
	ds_read2_b32 v[54:55], v105 offset0:136 offset1:244
	v_fmac_f16_e32 v196, v194, v60
	v_fmac_f16_e32 v205, v203, v62
	v_add_f16_e32 v223, v196, v205
	s_waitcnt lgkmcnt(0)
	v_lshrrev_b32_e32 v197, 16, v54
	v_lshrrev_b32_e32 v199, 16, v55
	v_mul_f16_sdwa v201, v54, v57 dst_sel:DWORD dst_unused:UNUSED_PAD src0_sel:DWORD src1_sel:WORD_1
	v_mul_f16_sdwa v202, v55, v61 dst_sel:DWORD dst_unused:UNUSED_PAD src0_sel:DWORD src1_sel:WORD_1
	v_mul_f16_sdwa v198, v197, v57 dst_sel:DWORD dst_unused:UNUSED_PAD src0_sel:DWORD src1_sel:WORD_1
	v_mul_f16_sdwa v200, v199, v61 dst_sel:DWORD dst_unused:UNUSED_PAD src0_sel:DWORD src1_sel:WORD_1
	v_fmac_f16_e32 v201, v197, v57
	v_fmac_f16_e32 v202, v199, v61
	v_fma_f16 v198, v54, v57, -v198
	v_mul_f16_sdwa v54, v203, v62 dst_sel:DWORD dst_unused:UNUSED_PAD src0_sel:DWORD src1_sel:WORD_1
	v_fma_f16 v200, v55, v61, -v200
	v_fma_f16 v204, v165, v62, -v54
	ds_read2_b32 v[54:55], v121 offset0:16 offset1:124
	v_add_f16_e32 v220, v195, v204
	s_waitcnt lgkmcnt(0)
	v_lshrrev_b32_e32 v165, 16, v54
	v_lshrrev_b32_e32 v207, 16, v55
	v_mul_f16_sdwa v209, v54, v59 dst_sel:DWORD dst_unused:UNUSED_PAD src0_sel:DWORD src1_sel:WORD_1
	v_mul_f16_sdwa v210, v55, v63 dst_sel:DWORD dst_unused:UNUSED_PAD src0_sel:DWORD src1_sel:WORD_1
	;; [unrolled: 1-line block ×4, first 2 shown]
	v_fmac_f16_e32 v209, v165, v59
	v_fmac_f16_e32 v210, v207, v63
	v_lshrrev_b32_e32 v207, 16, v179
	v_fma_f16 v206, v54, v59, -v206
	v_fma_f16 v208, v55, v63, -v208
	s_clause 0x1
	global_load_dword v161, v[52:53], off offset:56
	global_load_dwordx4 v[52:55], v[52:53], off offset:40
	s_waitcnt vmcnt(0)
	v_mul_f16_sdwa v165, v185, v52 dst_sel:DWORD dst_unused:UNUSED_PAD src0_sel:DWORD src1_sel:WORD_1
	v_fma_f16 v187, v177, v52, -v165
	ds_read2_b32 v[165:166], v97 offset0:24 offset1:132
	v_mul_f16_sdwa v177, v177, v52 dst_sel:DWORD dst_unused:UNUSED_PAD src0_sel:DWORD src1_sel:WORD_1
	v_fmac_f16_e32 v177, v185, v52
	s_waitcnt lgkmcnt(0)
	v_lshrrev_b32_e32 v192, 16, v165
	v_mul_f16_sdwa v194, v165, v37 dst_sel:DWORD dst_unused:UNUSED_PAD src0_sel:DWORD src1_sel:WORD_1
	v_lshrrev_b32_e32 v197, 16, v166
	v_mul_f16_sdwa v203, v166, v53 dst_sel:DWORD dst_unused:UNUSED_PAD src0_sel:DWORD src1_sel:WORD_1
	v_fmac_f16_e32 v194, v192, v37
	v_mul_f16_sdwa v192, v192, v37 dst_sel:DWORD dst_unused:UNUSED_PAD src0_sel:DWORD src1_sel:WORD_1
	v_fmac_f16_e32 v203, v197, v53
	v_add_f16_e32 v136, v209, v194
	v_fma_f16 v192, v165, v37, -v192
	v_mul_f16_sdwa v165, v197, v53 dst_sel:DWORD dst_unused:UNUSED_PAD src0_sel:DWORD src1_sel:WORD_1
	v_sub_f16_e32 v255, v209, v194
	v_add_f16_e32 v233, v206, v192
	v_fma_f16 v199, v166, v53, -v165
	v_mul_f16_sdwa v165, v207, v54 dst_sel:DWORD dst_unused:UNUSED_PAD src0_sel:DWORD src1_sel:WORD_1
	v_sub_f16_e32 v94, v206, v192
	v_add_f16_e32 v185, v208, v199
	v_fma_f16 v211, v179, v54, -v165
	ds_read2_b32 v[165:166], v116 offset0:32 offset1:140
	v_mul_f16_sdwa v179, v179, v54 dst_sel:DWORD dst_unused:UNUSED_PAD src0_sel:DWORD src1_sel:WORD_1
	v_sub_f16_e32 v230, v187, v211
	v_fmac_f16_e32 v179, v207, v54
	v_sub_f16_e32 v226, v177, v179
	s_waitcnt lgkmcnt(0)
	v_lshrrev_b32_e32 v212, 16, v165
	v_mul_f16_sdwa v213, v165, v39 dst_sel:DWORD dst_unused:UNUSED_PAD src0_sel:DWORD src1_sel:WORD_1
	v_mul_f16_sdwa v215, v166, v55 dst_sel:DWORD dst_unused:UNUSED_PAD src0_sel:DWORD src1_sel:WORD_1
	v_fmac_f16_e32 v213, v212, v39
	v_mul_f16_sdwa v212, v212, v39 dst_sel:DWORD dst_unused:UNUSED_PAD src0_sel:DWORD src1_sel:WORD_1
	v_sub_f16_e32 v239, v213, v194
	v_fma_f16 v212, v165, v39, -v212
	v_lshrrev_b32_e32 v165, 16, v166
	v_add_f16_e32 v2, v201, v213
	v_sub_f16_e32 v238, v212, v192
	v_mul_f16_sdwa v214, v165, v55 dst_sel:DWORD dst_unused:UNUSED_PAD src0_sel:DWORD src1_sel:WORD_1
	v_fmac_f16_e32 v215, v165, v55
	v_add_f16_e32 v235, v198, v212
	v_sub_f16_e32 v64, v198, v212
	v_fma_f16 v214, v166, v55, -v214
	v_lshrrev_b32_e32 v166, 16, v181
	v_sub_f16_e32 v229, v202, v215
	v_add_f16_e32 v197, v200, v214
	v_mul_f16_sdwa v216, v166, v161 dst_sel:DWORD dst_unused:UNUSED_PAD src0_sel:DWORD src1_sel:WORD_1
	v_sub_f16_e32 v218, v199, v214
	v_fma_f16 v216, v181, v161, -v216
	v_mul_f16_sdwa v181, v181, v161 dst_sel:DWORD dst_unused:UNUSED_PAD src0_sel:DWORD src1_sel:WORD_1
	v_add_f16_e32 v219, v204, v216
	v_fmac_f16_e32 v181, v166, v161
	ds_read2_b32 v[165:166], v130 offset1:108
	v_sub_f16_e32 v221, v211, v216
	v_sub_f16_e32 v232, v204, v216
	s_waitcnt lgkmcnt(0)
	v_add_f16_e32 v222, v205, v181
	v_sub_f16_e32 v224, v179, v181
	v_sub_f16_e32 v228, v205, v181
	s_barrier
	buffer_gl0_inv
	v_fma_f16 v185, -0.5, v185, v166
	v_lshrrev_b32_e32 v207, 16, v166
	v_add_f16_e32 v217, v166, v200
	v_fmac_f16_e32 v166, -0.5, v197
	v_sub_f16_e32 v197, v208, v200
	v_lshrrev_b32_e32 v237, 16, v165
	v_fma_f16 v233, -0.5, v233, v165
	v_fma_f16 v235, -0.5, v235, v165
	v_add_f16_e32 v165, v165, v198
	v_add_f16_e32 v197, v197, v218
	;; [unrolled: 1-line block ×3, first 2 shown]
	v_fma_f16 v136, -0.5, v136, v237
	v_add_f16_e32 v165, v165, v206
	v_fma_f16 v218, -0.5, v218, v195
	v_fmac_f16_e32 v195, -0.5, v219
	v_sub_f16_e32 v219, v187, v204
	v_add_f16_e32 v165, v165, v192
	v_fmamk_f16 v162, v64, 0xbb9c, v136
	v_fmac_f16_e32 v136, 0x3b9c, v64
	v_fmamk_f16 v227, v226, 0xbb9c, v195
	v_add_f16_e32 v219, v219, v221
	v_add_f16_e32 v221, v177, v179
	v_fmac_f16_e32 v195, 0x3b9c, v226
	v_add_f16_e32 v165, v165, v212
	v_fmac_f16_e32 v162, 0xb8b4, v94
	v_fmac_f16_e32 v136, 0x38b4, v94
	v_fma_f16 v221, -0.5, v221, v196
	v_fmac_f16_e32 v196, -0.5, v222
	v_sub_f16_e32 v222, v177, v205
	v_fmac_f16_e32 v195, 0xb8b4, v228
	v_fmac_f16_e32 v227, 0x38b4, v228
	v_fmamk_f16 v231, v230, 0x3b9c, v196
	v_add_f16_e32 v222, v222, v224
	v_sub_f16_e32 v224, v210, v203
	v_fmac_f16_e32 v196, 0xbb9c, v230
	v_fmac_f16_e32 v195, 0x34f2, v219
	;; [unrolled: 1-line block ×4, first 2 shown]
	v_fmamk_f16 v225, v224, 0xbb9c, v166
	v_fmac_f16_e32 v166, 0x3b9c, v224
	v_fmac_f16_e32 v196, 0x38b4, v232
	v_mul_f16_e32 v234, 0xb4f2, v195
	v_fmac_f16_e32 v231, 0x34f2, v222
	v_fmac_f16_e32 v225, 0x38b4, v229
	;; [unrolled: 1-line block ×7, first 2 shown]
	v_add_f16_e32 v236, v166, v234
	v_sub_f16_e32 v234, v166, v234
	v_sub_f16_e32 v166, v198, v206
	v_add_f16_e32 v238, v166, v238
	v_sub_f16_e32 v166, v201, v209
	v_add_f16_e32 v239, v166, v239
	v_sub_f16_e32 v166, v184, v186
	v_fmac_f16_e32 v162, 0x34f2, v239
	v_add_f16_e32 v240, v166, v240
	v_sub_f16_e32 v166, v9, v13
	v_fmac_f16_e32 v136, 0x34f2, v239
	v_add_f16_e32 v241, v166, v241
	v_add_f16_e32 v166, v186, v188
	v_fma_f16 v242, -0.5, v166, v182
	v_add_f16_e32 v166, v13, v15
	v_fmamk_f16 v247, v246, 0x3b9c, v242
	v_fma_f16 v243, -0.5, v166, v183
	v_fmac_f16_e32 v242, 0xbb9c, v246
	v_fmac_f16_e32 v247, 0x38b4, v248
	v_fmamk_f16 v166, v244, 0xbb9c, v243
	v_fmac_f16_e32 v243, 0x3b9c, v244
	v_fmac_f16_e32 v242, 0xb8b4, v248
	;; [unrolled: 1-line block ×8, first 2 shown]
	v_mul_f16_e32 v249, 0x38b4, v166
	v_fmac_f16_e32 v249, 0x3a79, v247
	v_mul_f16_e32 v247, 0xb8b4, v247
	v_fmac_f16_e32 v247, 0x3a79, v166
	v_mul_u32_u24_sdwa v166, v178, v250 dst_sel:DWORD dst_unused:UNUSED_PAD src0_sel:WORD_0 src1_sel:DWORD
	v_add_f16_e32 v178, v237, v201
	v_fmac_f16_e32 v237, -0.5, v2
	v_add_f16_e32 v2, v184, v193
	v_add_f16_e32 v1, v162, v247
	v_add_lshl_u32 v166, v166, v180, 2
	v_add_f16_e32 v180, v182, v184
	v_add_f16_e32 v178, v178, v209
	v_fmac_f16_e32 v182, -0.5, v2
	v_sub_f16_e32 v2, v15, v11
	v_add_f16_e32 v180, v180, v186
	v_add_f16_e32 v178, v178, v194
	;; [unrolled: 1-line block ×7, first 2 shown]
	v_pack_b32_f16 v252, v252, v253
	v_sub_f16_e32 v253, v201, v213
	v_fmamk_f16 v254, v253, 0x3b9c, v233
	v_fmac_f16_e32 v233, 0xbb9c, v253
	v_fmac_f16_e32 v254, 0x38b4, v255
	;; [unrolled: 1-line block ×5, first 2 shown]
	v_add_f16_e32 v0, v254, v249
	v_pack_b32_f16 v0, v0, v1
	v_sub_f16_e32 v1, v192, v212
	v_sub_f16_e32 v192, v194, v213
	v_fmamk_f16 v194, v255, 0xbb9c, v235
	v_fmac_f16_e32 v235, 0x3b9c, v255
	ds_write2_b32 v166, v252, v0 offset1:9
	v_sub_f16_e32 v0, v206, v198
	v_fmac_f16_e32 v194, 0x38b4, v253
	v_fmac_f16_e32 v235, 0xb8b4, v253
	v_add_f16_e32 v0, v0, v1
	v_sub_f16_e32 v1, v209, v201
	v_fmac_f16_e32 v194, 0x34f2, v0
	v_fmac_f16_e32 v235, 0x34f2, v0
	v_add_f16_e32 v0, v1, v192
	v_sub_f16_e32 v1, v186, v184
	v_fmamk_f16 v186, v94, 0x3b9c, v237
	v_fmac_f16_e32 v237, 0xbb9c, v94
	v_sub_f16_e32 v184, v188, v193
	v_fmac_f16_e32 v186, 0xb8b4, v64
	v_fmac_f16_e32 v237, 0x38b4, v64
	v_sub_f16_e32 v64, v178, v251
	v_fmac_f16_e32 v186, 0x34f2, v0
	v_fmac_f16_e32 v237, 0x34f2, v0
	v_add_f16_e32 v0, v1, v184
	v_add_f16_e32 v1, v9, v11
	v_mul_f16_e32 v184, 0xb4f2, v196
	v_fmac_f16_e32 v183, -0.5, v1
	v_sub_f16_e32 v1, v13, v9
	v_fmamk_f16 v9, v248, 0xbb9c, v182
	v_fmac_f16_e32 v182, 0x3b9c, v248
	v_fmac_f16_e32 v184, 0xbb9c, v195
	;; [unrolled: 1-line block ×6, first 2 shown]
	v_add_f16_e32 v0, v1, v2
	v_fmamk_f16 v1, v245, 0x3b9c, v183
	v_fmac_f16_e32 v183, 0xbb9c, v245
	v_mul_f16_e32 v2, 0xbb9c, v9
	v_fmac_f16_e32 v1, 0xb8b4, v244
	v_fmac_f16_e32 v183, 0x38b4, v244
	v_fmac_f16_e32 v1, 0x34f2, v0
	v_fmac_f16_e32 v183, 0x34f2, v0
	v_mul_f16_e32 v0, 0x3b9c, v1
	v_fmac_f16_e32 v2, 0x34f2, v1
	v_mul_f16_e32 v1, 0xb4f2, v182
	v_fmac_f16_e32 v0, 0x34f2, v9
	;; [unrolled: 2-line block ×3, first 2 shown]
	v_add_f16_e32 v13, v186, v2
	v_sub_f16_e32 v2, v186, v2
	v_add_f16_e32 v11, v194, v0
	v_fmac_f16_e32 v9, 0xbb9c, v182
	v_sub_f16_e32 v0, v194, v0
	v_pack_b32_f16 v11, v11, v13
	v_add_f16_e32 v13, v235, v1
	v_add_f16_e32 v15, v237, v9
	v_pack_b32_f16 v0, v0, v2
	v_sub_f16_e32 v2, v237, v9
	v_pack_b32_f16 v13, v13, v15
	v_sub_f16_e32 v15, v165, v180
	v_fmamk_f16 v180, v229, 0x3b9c, v185
	v_fmac_f16_e32 v185, 0xbb9c, v229
	ds_write2_b32 v166, v11, v13 offset0:18 offset1:27
	v_mul_f16_e32 v11, 0xba79, v242
	v_mul_f16_e32 v13, 0xba79, v243
	v_pack_b32_f16 v15, v15, v64
	v_sub_f16_e32 v64, v162, v247
	v_fmamk_f16 v162, v232, 0xbb9c, v221
	v_fmac_f16_e32 v11, 0x38b4, v243
	v_fmac_f16_e32 v13, 0xb8b4, v242
	;; [unrolled: 1-line block ×5, first 2 shown]
	v_add_f16_e32 v94, v233, v11
	v_add_f16_e32 v165, v136, v13
	v_sub_f16_e32 v9, v136, v13
	v_sub_f16_e32 v136, v181, v179
	;; [unrolled: 1-line block ×3, first 2 shown]
	v_fmac_f16_e32 v221, 0x38b4, v230
	v_pack_b32_f16 v94, v94, v165
	v_fmamk_f16 v165, v228, 0x3b9c, v218
	v_fmac_f16_e32 v218, 0xbb9c, v228
	v_fmac_f16_e32 v185, 0xb8b4, v224
	ds_write2_b32 v166, v94, v15 offset0:36 offset1:45
	v_sub_f16_e32 v15, v254, v249
	v_sub_f16_e32 v94, v205, v177
	v_fmac_f16_e32 v165, 0x38b4, v226
	v_fmac_f16_e32 v218, 0xb8b4, v226
	v_pack_b32_f16 v15, v15, v64
	v_sub_f16_e32 v64, v216, v211
	v_add_f16_e32 v94, v94, v136
	v_mul_u32_u24_sdwa v136, v190, v250 dst_sel:DWORD dst_unused:UNUSED_PAD src0_sel:WORD_0 src1_sel:DWORD
	ds_write2_b32 v166, v15, v0 offset0:54 offset1:63
	v_sub_f16_e32 v15, v204, v187
	v_sub_f16_e32 v0, v235, v1
	;; [unrolled: 1-line block ×3, first 2 shown]
	v_fmac_f16_e32 v162, 0x34f2, v94
	v_sub_f16_e32 v11, v202, v210
	v_add_f16_e32 v15, v15, v64
	v_pack_b32_f16 v0, v0, v2
	v_pack_b32_f16 v1, v1, v9
	v_add_f16_e32 v64, v223, v177
	v_mul_f16_e32 v177, 0x38b4, v162
	v_fmac_f16_e32 v165, 0x34f2, v15
	v_add_f16_e32 v11, v11, v13
	ds_write2_b32 v166, v0, v1 offset0:72 offset1:81
	v_sub_f16_e32 v0, v200, v208
	v_sub_f16_e32 v1, v214, v199
	v_fmac_f16_e32 v177, 0x3a79, v165
	v_mul_f16_e32 v178, 0xb8b4, v165
	v_add_lshl_u32 v165, v136, v191, 2
	v_add_f16_e32 v136, v207, v202
	v_add_f16_e32 v0, v0, v1
	;; [unrolled: 1-line block ×6, first 2 shown]
	v_fmac_f16_e32 v178, 0x3a79, v162
	v_add_f16_e32 v1, v1, v199
	v_add_f16_e32 v13, v13, v211
	v_add_f16_e32 v64, v64, v181
	v_add_f16_e32 v136, v136, v203
	v_sub_f16_e32 v2, v200, v214
	v_add_f16_e32 v1, v1, v214
	v_add_f16_e32 v13, v13, v216
	v_sub_f16_e32 v9, v208, v199
	v_add_f16_e32 v136, v136, v215
	v_fmac_f16_e32 v180, 0x34f2, v0
	v_fmac_f16_e32 v218, 0x34f2, v15
	v_add_f16_e32 v162, v1, v13
	v_fmac_f16_e32 v221, 0x34f2, v94
	v_add_f16_e32 v179, v136, v64
	v_add_f16_e32 v182, v180, v177
	v_fmac_f16_e32 v185, 0x34f2, v0
	v_mul_f16_e32 v0, 0xba79, v218
	v_sub_f16_e32 v1, v1, v13
	v_pack_b32_f16 v162, v162, v179
	v_add_f16_e32 v179, v210, v203
	v_fmamk_f16 v15, v171, 0x3b9c, v35
	v_fmac_f16_e32 v0, 0x38b4, v221
	v_fmac_f16_e32 v35, 0xbb9c, v171
	v_fma_f16 v179, -0.5, v179, v207
	v_fmac_f16_e32 v15, 0x38b4, v142
	v_fmac_f16_e32 v35, 0xb8b4, v142
	v_fmamk_f16 v181, v2, 0xbb9c, v179
	v_fmac_f16_e32 v179, 0x3b9c, v2
	v_fmac_f16_e32 v181, 0xb8b4, v9
	;; [unrolled: 1-line block ×5, first 2 shown]
	v_add_f16_e32 v11, v185, v0
	v_sub_f16_e32 v0, v185, v0
	v_add_f16_e32 v183, v181, v178
	v_pack_b32_f16 v182, v182, v183
	v_mul_f16_e32 v183, 0xbb9c, v227
	ds_write2_b32 v165, v162, v182 offset1:9
	v_add_f16_e32 v162, v202, v215
	v_sub_f16_e32 v182, v203, v215
	v_fmac_f16_e32 v183, 0x34f2, v231
	v_fmac_f16_e32 v207, -0.5, v162
	v_sub_f16_e32 v162, v210, v202
	v_add_f16_e32 v162, v162, v182
	v_fmamk_f16 v182, v9, 0x3b9c, v207
	v_fmac_f16_e32 v207, 0xbb9c, v9
	v_sub_f16_e32 v9, v136, v64
	v_fmac_f16_e32 v182, 0xb8b4, v2
	v_fmac_f16_e32 v207, 0x38b4, v2
	v_mul_f16_e32 v2, 0xba79, v221
	v_pack_b32_f16 v1, v1, v9
	v_fmac_f16_e32 v182, 0x34f2, v162
	v_fmac_f16_e32 v207, 0x34f2, v162
	;; [unrolled: 1-line block ×3, first 2 shown]
	v_mul_f16_e32 v162, 0x3b9c, v231
	v_add_f16_e32 v187, v182, v183
	v_add_f16_e32 v13, v179, v2
	v_fmac_f16_e32 v162, 0x34f2, v227
	v_sub_f16_e32 v2, v179, v2
	v_lshrrev_b16 v179, 14, v21
	v_pack_b32_f16 v11, v11, v13
	v_sub_f16_e32 v9, v225, v162
	v_sub_f16_e32 v13, v182, v183
	v_pack_b32_f16 v0, v0, v2
	v_sub_f16_e32 v2, v8, v10
	ds_write2_b32 v165, v11, v1 offset0:36 offset1:45
	v_sub_f16_e32 v1, v180, v177
	v_sub_f16_e32 v11, v181, v178
	v_pack_b32_f16 v9, v9, v13
	v_sub_f16_e32 v13, v41, v42
	v_add_f16_e32 v186, v225, v162
	v_mul_lo_u16 v21, 0x5a, v179
	v_pack_b32_f16 v1, v1, v11
	v_sub_f16_e32 v11, v48, v46
	v_pack_b32_f16 v186, v186, v187
	v_add_f16_e32 v187, v207, v184
	ds_write2_b32 v165, v1, v9 offset0:54 offset1:63
	v_sub_f16_e32 v1, v207, v184
	v_sub_f16_e32 v9, v22, v23
	v_sub_nc_u16 v20, v20, v21
	v_pack_b32_f16 v187, v236, v187
	v_pack_b32_f16 v1, v234, v1
	v_and_b32_e32 v182, 0xff, v20
	ds_write2_b32 v165, v186, v187 offset0:18 offset1:27
	ds_write2_b32 v165, v1, v0 offset0:72 offset1:81
	v_sub_f16_e32 v0, v8, v12
	v_sub_f16_e32 v1, v10, v14
	;; [unrolled: 1-line block ×3, first 2 shown]
	v_add_f16_e32 v0, v0, v1
	v_add_f16_e32 v1, v40, v12
	v_sub_f16_e32 v12, v47, v45
	v_add_f16_e32 v1, v1, v14
	v_sub_f16_e32 v14, v44, v43
	v_add_f16_e32 v11, v11, v12
	v_add_f16_e32 v12, v174, v42
	v_fmamk_f16 v42, v169, 0x3b9c, v30
	v_add_f16_e32 v1, v1, v10
	v_add_f16_e32 v13, v13, v14
	v_fmamk_f16 v14, v170, 0xbb9c, v49
	v_fmac_f16_e32 v15, 0x34f2, v11
	v_sub_f16_e32 v10, v29, v28
	v_add_f16_e32 v12, v12, v43
	v_fmac_f16_e32 v42, 0x38b4, v51
	v_fmac_f16_e32 v14, 0xb8b4, v167
	v_fmac_f16_e32 v49, 0x3b9c, v170
	v_add_f16_e32 v9, v9, v10
	v_add_f16_e32 v10, v164, v46
	;; [unrolled: 1-line block ×3, first 2 shown]
	v_fmac_f16_e32 v14, 0x34f2, v13
	v_fmac_f16_e32 v42, 0x34f2, v0
	;; [unrolled: 1-line block ×3, first 2 shown]
	v_add_f16_e32 v10, v10, v45
	v_fmac_f16_e32 v49, 0x38b4, v167
	v_mul_f16_e32 v40, 0x38b4, v14
	v_fmac_f16_e32 v35, 0x34f2, v11
	v_fmac_f16_e32 v30, 0xb8b4, v51
	v_add_f16_e32 v10, v10, v47
	v_fmac_f16_e32 v49, 0x34f2, v13
	v_fmac_f16_e32 v40, 0x3a79, v15
	v_mul_f16_e32 v15, 0xb8b4, v15
	v_fmac_f16_e32 v30, 0x34f2, v0
	v_mul_f16_e32 v0, 0xba79, v35
	v_add_f16_e32 v44, v42, v40
	v_fmac_f16_e32 v15, 0x3a79, v14
	v_mad_u16 v14, 0x5a, v18, v19
	v_add_f16_e32 v18, v31, v22
	v_add_f16_e32 v19, v1, v10
	v_fmac_f16_e32 v0, 0x38b4, v49
	v_sub_f16_e32 v1, v1, v10
	v_lshlrev_b32_sdwa v164, v25, v14 dst_sel:DWORD dst_unused:UNUSED_PAD src0_sel:DWORD src1_sel:WORD_0
	v_add_f16_e32 v18, v18, v23
	v_add_f16_e32 v14, v22, v29
	;; [unrolled: 1-line block ×5, first 2 shown]
	v_pack_b32_f16 v19, v19, v41
	v_add_f16_e32 v41, v23, v28
	v_fma_f16 v41, -0.5, v41, v31
	v_fmac_f16_e32 v31, -0.5, v14
	v_sub_f16_e32 v14, v23, v22
	v_mul_f16_e32 v22, 0xbb9c, v172
	v_mul_f16_e32 v23, 0xb4f2, v32
	v_fmamk_f16 v43, v2, 0xbb9c, v41
	v_fmac_f16_e32 v41, 0x3b9c, v2
	v_fmac_f16_e32 v22, 0x34f2, v173
	v_fmac_f16_e32 v23, 0xbb9c, v34
	v_fmac_f16_e32 v43, 0xb8b4, v8
	v_fmac_f16_e32 v41, 0x38b4, v8
	v_fmac_f16_e32 v43, 0x34f2, v9
	v_fmac_f16_e32 v41, 0x34f2, v9
	v_add_f16_e32 v9, v30, v0
	v_sub_f16_e32 v0, v30, v0
	v_add_f16_e32 v45, v43, v15
	v_pack_b32_f16 v44, v44, v45
	ds_write2_b32 v164, v19, v44 offset1:9
	v_sub_f16_e32 v19, v28, v29
	v_add_f16_e32 v14, v14, v19
	v_fmamk_f16 v19, v8, 0x3b9c, v31
	v_fmac_f16_e32 v31, 0xbb9c, v8
	v_sub_f16_e32 v8, v18, v12
	v_fmac_f16_e32 v19, 0xb8b4, v2
	v_fmac_f16_e32 v31, 0x38b4, v2
	v_mul_f16_e32 v2, 0xba79, v49
	v_pack_b32_f16 v1, v1, v8
	v_fmac_f16_e32 v19, 0x34f2, v14
	v_fmac_f16_e32 v31, 0x34f2, v14
	v_fmac_f16_e32 v2, 0xb8b4, v35
	v_mul_f16_e32 v14, 0x3b9c, v173
	v_add_f16_e32 v29, v19, v22
	v_add_f16_e32 v10, v41, v2
	v_fmac_f16_e32 v14, 0x34f2, v172
	v_sub_f16_e32 v2, v41, v2
	v_pack_b32_f16 v9, v9, v10
	v_sub_f16_e32 v8, v17, v14
	v_sub_f16_e32 v10, v19, v22
	v_pack_b32_f16 v0, v0, v2
	v_add_f16_e32 v28, v17, v14
	ds_write2_b32 v164, v9, v1 offset0:36 offset1:45
	v_sub_f16_e32 v1, v42, v40
	v_sub_f16_e32 v9, v43, v15
	v_pack_b32_f16 v8, v8, v10
	v_pack_b32_f16 v28, v28, v29
	v_add_f16_e32 v29, v31, v23
	v_pack_b32_f16 v1, v1, v9
	v_pack_b32_f16 v29, v176, v29
	ds_write2_b32 v164, v1, v8 offset0:54 offset1:63
	v_sub_f16_e32 v1, v31, v23
	ds_write2_b32 v164, v28, v29 offset0:18 offset1:27
	v_pack_b32_f16 v1, v175, v1
	ds_write2_b32 v164, v1, v0 offset0:72 offset1:81
	v_mov_b32_e32 v0, 0x2d83
	s_waitcnt lgkmcnt(0)
	s_barrier
	buffer_gl0_inv
	ds_read2_b32 v[22:23], v111 offset0:104 offset1:212
	v_mul_u32_u24_sdwa v1, v16, v0 dst_sel:DWORD dst_unused:UNUSED_PAD src0_sel:WORD_0 src1_sel:DWORD
	v_lshrrev_b32_e32 v12, 20, v1
	v_mul_lo_u16 v1, 0x5a, v12
	v_sub_nc_u16 v13, v16, v1
	v_add_nc_u32_e32 v1, 0xffffffa6, v125
	v_mad_u16 v12, 0x21c, v12, v13
	v_cndmask_b32_e32 v1, v1, v125, vcc_lo
	v_mul_i32_i24_e32 v2, 20, v1
	v_mul_hi_i32_i24_e32 v8, 20, v1
	v_add_co_u32 v16, vcc_lo, s2, v2
	v_mul_lo_u16 v2, v13, 20
	v_add_co_ci_u32_e32 v17, vcc_lo, s3, v8, vcc_lo
	v_cmp_lt_u16_e32 vcc_lo, 0x59, v24
	v_and_b32_e32 v2, 0xffff, v2
	v_cndmask_b32_e64 v24, 0, 0x21c, vcc_lo
	v_add_co_u32 v8, s0, s2, v2
	v_add_co_ci_u32_e64 v9, null, s3, 0, s0
	s_clause 0x1
	global_load_dword v142, v[8:9], off offset:364
	global_load_dwordx4 v[8:11], v[8:9], off offset:348
	ds_read2_b32 v[31:32], v116 offset0:32 offset1:140
	s_waitcnt lgkmcnt(1)
	v_lshrrev_b32_e32 v2, 16, v22
	ds_read2_b32 v[33:34], v95 offset0:48 offset1:156
	ds_read2_b32 v[44:45], v97 offset0:24 offset1:132
	;; [unrolled: 1-line block ×4, first 2 shown]
	v_add_lshl_u32 v176, v1, v24, 2
	s_waitcnt lgkmcnt(4)
	v_lshrrev_b32_e32 v15, 16, v31
	v_lshrrev_b32_e32 v41, 16, v32
	s_waitcnt lgkmcnt(3)
	v_lshrrev_b32_e32 v30, 16, v33
	s_waitcnt lgkmcnt(1)
	v_lshrrev_b32_e32 v19, 16, v47
	s_waitcnt vmcnt(1)
	v_mul_f16_sdwa v64, v47, v142 dst_sel:DWORD dst_unused:UNUSED_PAD src0_sel:DWORD src1_sel:WORD_1
	s_waitcnt vmcnt(0)
	v_mul_f16_sdwa v14, v22, v9 dst_sel:DWORD dst_unused:UNUSED_PAD src0_sel:DWORD src1_sel:WORD_1
	v_mul_f16_sdwa v28, v31, v11 dst_sel:DWORD dst_unused:UNUSED_PAD src0_sel:DWORD src1_sel:WORD_1
	v_mul_f16_sdwa v18, v15, v11 dst_sel:DWORD dst_unused:UNUSED_PAD src0_sel:DWORD src1_sel:WORD_1
	s_waitcnt lgkmcnt(0)
	v_mul_f16_sdwa v94, v49, v8 dst_sel:DWORD dst_unused:UNUSED_PAD src0_sel:DWORD src1_sel:WORD_1
	v_fmac_f16_e32 v64, v19, v142
	v_fmac_f16_e32 v14, v2, v9
	v_mul_f16_sdwa v2, v2, v9 dst_sel:DWORD dst_unused:UNUSED_PAD src0_sel:DWORD src1_sel:WORD_1
	v_fmac_f16_e32 v28, v15, v11
	v_fma_f16 v29, v31, v11, -v18
	v_mul_f16_sdwa v18, v45, v10 dst_sel:DWORD dst_unused:UNUSED_PAD src0_sel:DWORD src1_sel:WORD_1
	v_mul_f16_sdwa v19, v19, v142 dst_sel:DWORD dst_unused:UNUSED_PAD src0_sel:DWORD src1_sel:WORD_1
	v_fma_f16 v15, v22, v9, -v2
	v_lshrrev_b32_e32 v22, 16, v49
	v_add_f16_e32 v2, v15, v29
	v_add_f16_e32 v51, v33, v15
	v_fmac_f16_e32 v94, v22, v8
	v_mul_f16_sdwa v22, v22, v8 dst_sel:DWORD dst_unused:UNUSED_PAD src0_sel:DWORD src1_sel:WORD_1
	v_fmac_f16_e32 v33, -0.5, v2
	v_sub_f16_e32 v2, v14, v28
	v_fmamk_f16 v31, v2, 0x3aee, v33
	v_fmac_f16_e32 v33, 0xbaee, v2
	v_lshrrev_b32_e32 v2, 16, v45
	v_fmac_f16_e32 v18, v2, v10
	v_mul_f16_sdwa v2, v2, v10 dst_sel:DWORD dst_unused:UNUSED_PAD src0_sel:DWORD src1_sel:WORD_1
	v_add_f16_e32 v187, v94, v18
	v_fma_f16 v2, v45, v10, -v2
	v_fma_f16 v45, v47, v142, -v19
	;; [unrolled: 1-line block ×3, first 2 shown]
	v_lshrrev_b32_e32 v22, 16, v34
	v_add_f16_e32 v19, v2, v45
	v_add_f16_e32 v136, v47, v2
	v_sub_f16_e32 v2, v2, v45
	v_fmac_f16_e32 v47, -0.5, v19
	v_sub_f16_e32 v19, v18, v64
	v_fmamk_f16 v162, v19, 0x3aee, v47
	v_fmac_f16_e32 v47, 0xbaee, v19
	v_add_f16_e32 v19, v18, v64
	v_fmac_f16_e32 v94, -0.5, v19
	s_clause 0x1
	global_load_dword v186, v[16:17], off offset:364
	global_load_dwordx4 v[16:19], v[16:17], off offset:348
	v_fmamk_f16 v188, v2, 0xbaee, v94
	v_fmac_f16_e32 v94, 0x3aee, v2
	v_mul_f16_e32 v2, -0.5, v47
	v_mul_f16_e32 v13, 0x3aee, v188
	v_fmac_f16_e32 v2, 0x3aee, v94
	v_fmac_f16_e32 v13, 0.5, v162
	v_add_f16_e32 v190, v33, v2
	v_sub_f16_e32 v2, v33, v2
	s_waitcnt vmcnt(1)
	v_mul_f16_sdwa v43, v32, v186 dst_sel:DWORD dst_unused:UNUSED_PAD src0_sel:DWORD src1_sel:WORD_1
	s_waitcnt vmcnt(0)
	v_mul_f16_sdwa v35, v22, v16 dst_sel:DWORD dst_unused:UNUSED_PAD src0_sel:DWORD src1_sel:WORD_1
	v_mul_f16_sdwa v178, v34, v16 dst_sel:DWORD dst_unused:UNUSED_PAD src0_sel:DWORD src1_sel:WORD_1
	;; [unrolled: 1-line block ×3, first 2 shown]
	v_fmac_f16_e32 v43, v41, v186
	v_fma_f16 v177, v34, v16, -v35
	v_lshrrev_b32_e32 v34, 16, v23
	v_fmac_f16_e32 v178, v22, v16
	v_mul_f16_sdwa v22, v34, v18 dst_sel:DWORD dst_unused:UNUSED_PAD src0_sel:DWORD src1_sel:WORD_1
	v_fmac_f16_e32 v40, v34, v18
	v_fma_f16 v35, v23, v18, -v22
	v_mul_f16_sdwa v22, v41, v186 dst_sel:DWORD dst_unused:UNUSED_PAD src0_sel:DWORD src1_sel:WORD_1
	v_sub_f16_e32 v213, v40, v43
	v_fma_f16 v42, v32, v186, -v22
	ds_read2_b32 v[32:33], v132 offset0:56 offset1:164
	v_sub_f16_e32 v211, v35, v42
	s_waitcnt lgkmcnt(0)
	v_lshrrev_b32_e32 v21, 16, v32
	v_mul_f16_sdwa v172, v32, v17 dst_sel:DWORD dst_unused:UNUSED_PAD src0_sel:DWORD src1_sel:WORD_1
	v_lshrrev_b32_e32 v49, 16, v33
	v_fmac_f16_e32 v172, v21, v17
	v_mul_f16_sdwa v21, v21, v17 dst_sel:DWORD dst_unused:UNUSED_PAD src0_sel:DWORD src1_sel:WORD_1
	v_fma_f16 v173, v32, v17, -v21
	v_mad_u64_u32 v[20:21], null, v182, 20, s[2:3]
	s_clause 0x1
	global_load_dword v167, v[20:21], off offset:364
	global_load_dwordx4 v[20:23], v[20:21], off offset:348
	ds_read2_b32 v[170:171], v105 offset0:136 offset1:244
	s_waitcnt lgkmcnt(0)
	v_lshrrev_b32_e32 v175, 16, v170
	s_waitcnt vmcnt(0)
	v_mul_f16_sdwa v32, v49, v21 dst_sel:DWORD dst_unused:UNUSED_PAD src0_sel:DWORD src1_sel:WORD_1
	v_mul_f16_sdwa v184, v33, v21 dst_sel:DWORD dst_unused:UNUSED_PAD src0_sel:DWORD src1_sel:WORD_1
	;; [unrolled: 1-line block ×3, first 2 shown]
	v_fma_f16 v183, v33, v21, -v32
	ds_read2_b32 v[32:33], v131 offset0:112 offset1:220
	v_fmac_f16_e32 v184, v49, v21
	v_fmac_f16_e32 v199, v175, v20
	v_mul_f16_sdwa v175, v175, v20 dst_sel:DWORD dst_unused:UNUSED_PAD src0_sel:DWORD src1_sel:WORD_1
	v_fma_f16 v200, v170, v20, -v175
	s_waitcnt lgkmcnt(0)
	v_lshrrev_b32_e32 v50, 16, v32
	v_mul_f16_sdwa v191, v33, v23 dst_sel:DWORD dst_unused:UNUSED_PAD src0_sel:DWORD src1_sel:WORD_1
	v_mul_f16_sdwa v168, v50, v19 dst_sel:DWORD dst_unused:UNUSED_PAD src0_sel:DWORD src1_sel:WORD_1
	v_fma_f16 v174, v32, v19, -v168
	v_lshrrev_b32_e32 v168, 16, v33
	v_mul_f16_sdwa v32, v32, v19 dst_sel:DWORD dst_unused:UNUSED_PAD src0_sel:DWORD src1_sel:WORD_1
	v_sub_f16_e32 v210, v173, v174
	v_mul_f16_sdwa v169, v168, v23 dst_sel:DWORD dst_unused:UNUSED_PAD src0_sel:DWORD src1_sel:WORD_1
	v_fmac_f16_e32 v32, v50, v19
	v_fmac_f16_e32 v191, v168, v23
	ds_read2_b32 v[49:50], v91 offset0:64 offset1:172
	v_fma_f16 v185, v33, v23, -v169
	v_mul_u32_u24_sdwa v33, v26, v0 dst_sel:DWORD dst_unused:UNUSED_PAD src0_sel:WORD_0 src1_sel:DWORD
	v_mul_u32_u24_sdwa v0, v27, v0 dst_sel:DWORD dst_unused:UNUSED_PAD src0_sel:WORD_0 src1_sel:DWORD
	ds_read2_b32 v[168:169], v93 offset0:120 offset1:228
	v_sub_f16_e32 v180, v172, v32
	v_lshrrev_b32_e32 v192, 20, v33
	v_lshrrev_b32_e32 v0, 20, v0
	v_mul_lo_u16 v33, 0x5a, v192
	v_sub_nc_u16 v193, v26, v33
	v_mul_lo_u16 v26, 0x5a, v0
	v_add_f16_e32 v33, v183, v185
	s_waitcnt lgkmcnt(1)
	v_mul_f16_sdwa v34, v49, v22 dst_sel:DWORD dst_unused:UNUSED_PAD src0_sel:DWORD src1_sel:WORD_1
	v_sub_nc_u16 v194, v27, v26
	ds_read2_b32 v[26:27], v130 offset1:108
	s_waitcnt lgkmcnt(1)
	v_lshrrev_b32_e32 v41, 16, v168
	v_mul_f16_sdwa v198, v168, v167 dst_sel:DWORD dst_unused:UNUSED_PAD src0_sel:DWORD src1_sel:WORD_1
	v_mad_u16 v0, 0x21c, v0, v194
	v_fmac_f16_e32 v198, v41, v167
	v_mul_f16_sdwa v41, v41, v167 dst_sel:DWORD dst_unused:UNUSED_PAD src0_sel:DWORD src1_sel:WORD_1
	s_waitcnt lgkmcnt(0)
	v_lshrrev_b32_e32 v195, 16, v27
	v_add_f16_e32 v196, v27, v183
	v_fmac_f16_e32 v27, -0.5, v33
	v_sub_f16_e32 v33, v184, v191
	v_lshrrev_b32_e32 v207, 16, v26
	v_fmamk_f16 v197, v33, 0x3aee, v27
	v_fmac_f16_e32 v27, 0xbaee, v33
	v_lshrrev_b32_e32 v33, 16, v49
	v_fmac_f16_e32 v34, v33, v22
	v_mul_f16_sdwa v33, v33, v22 dst_sel:DWORD dst_unused:UNUSED_PAD src0_sel:DWORD src1_sel:WORD_1
	v_add_f16_e32 v203, v199, v34
	v_fma_f16 v33, v49, v22, -v33
	v_fma_f16 v49, v168, v167, -v41
	v_add_f16_e32 v201, v200, v33
	v_add_f16_e32 v41, v33, v49
	v_sub_f16_e32 v33, v33, v49
	v_add_f16_e32 v49, v201, v49
	v_fmac_f16_e32 v200, -0.5, v41
	v_sub_f16_e32 v41, v34, v198
	v_fmamk_f16 v202, v41, 0x3aee, v200
	v_fmac_f16_e32 v200, 0xbaee, v41
	v_add_f16_e32 v41, v34, v198
	v_add_f16_e32 v34, v173, v174
	v_fmac_f16_e32 v199, -0.5, v41
	v_fma_f16 v181, -0.5, v34, v26
	v_add_f16_e32 v26, v26, v173
	v_fmamk_f16 v204, v33, 0xbaee, v199
	v_fmac_f16_e32 v199, 0x3aee, v33
	v_mul_f16_e32 v33, -0.5, v200
	v_add_f16_e32 v209, v26, v174
	v_add_f16_e32 v26, v40, v43
	v_fmac_f16_e32 v33, 0x3aee, v199
	v_add_f16_e32 v205, v27, v33
	v_sub_f16_e32 v206, v27, v33
	v_add_f16_e32 v27, v207, v172
	v_add_f16_e32 v33, v172, v32
	;; [unrolled: 1-line block ×5, first 2 shown]
	v_fmac_f16_e32 v178, -0.5, v26
	v_add_f16_e32 v26, v177, v35
	v_fmac_f16_e32 v207, -0.5, v33
	v_fmac_f16_e32 v177, -0.5, v32
	v_add_f16_e32 v214, v27, v43
	v_add_f16_e32 v212, v26, v42
	v_fmamk_f16 v26, v211, 0xbaee, v178
	v_fmamk_f16 v27, v213, 0x3aee, v177
	v_add_f16_e32 v24, v208, v214
	v_fmamk_f16 v217, v210, 0xbaee, v207
	v_add_f16_e32 v1, v209, v212
	v_mul_f16_e32 v215, 0x3aee, v26
	v_mul_f16_e32 v216, 0xbaee, v27
	v_fmac_f16_e32 v177, 0xbaee, v213
	v_fmac_f16_e32 v178, 0x3aee, v211
	v_pack_b32_f16 v1, v1, v24
	v_fmac_f16_e32 v215, 0.5, v27
	v_fmac_f16_e32 v216, 0.5, v26
	v_fmamk_f16 v24, v180, 0x3aee, v181
	v_fmac_f16_e32 v181, 0xbaee, v180
	v_fmac_f16_e32 v207, 0x3aee, v210
	v_sub_f16_e32 v180, v208, v214
	v_add_f16_e32 v27, v217, v216
	v_add_f16_e32 v26, v24, v215
	v_sub_f16_e32 v24, v24, v215
	v_pack_b32_f16 v218, v26, v27
	v_mul_lo_u16 v26, v194, 20
	v_mul_lo_u16 v27, v193, 20
	v_and_b32_e32 v26, 0xffff, v26
	v_and_b32_e32 v32, 0xffff, v27
	v_add_co_u32 v26, s0, s2, v26
	v_add_co_ci_u32_e64 v27, null, s3, 0, s0
	v_add_co_u32 v32, s0, s2, v32
	v_add_co_ci_u32_e64 v33, null, s3, 0, s0
	s_clause 0x3
	global_load_dword v168, v[26:27], off offset:364
	global_load_dword v170, v[32:33], off offset:364
	global_load_dwordx4 v[40:43], v[32:33], off offset:348
	global_load_dwordx4 v[32:35], v[26:27], off offset:348
	ds_read2_b32 v[26:27], v124 offset0:88 offset1:196
	ds_read2_b32 v[172:173], v121 offset0:16 offset1:124
	;; [unrolled: 1-line block ×3, first 2 shown]
	s_waitcnt vmcnt(0) lgkmcnt(0)
	s_barrier
	buffer_gl0_inv
	ds_write2_b32 v176, v1, v218 offset1:90
	v_mul_f16_e32 v1, -0.5, v177
	s_load_dwordx2 s[0:1], s[4:5], 0x38
	s_mul_i32 s5, s8, 0xffffdff0
	v_fmac_f16_e32 v1, 0x3aee, v178
	v_mul_f16_e32 v178, -0.5, v178
	v_add_f16_e32 v208, v181, v1
	v_fmac_f16_e32 v178, 0xbaee, v177
	v_sub_f16_e32 v177, v209, v212
	v_sub_f16_e32 v1, v181, v1
	v_add_nc_u32_e32 v181, 0x400, v176
	v_add_f16_e32 v209, v207, v178
	v_pack_b32_f16 v177, v177, v180
	v_add_nc_u32_e32 v180, 0x200, v176
	v_sub_f16_e32 v178, v207, v178
	v_pack_b32_f16 v208, v208, v209
	v_pack_b32_f16 v1, v1, v178
	v_sub_f16_e32 v178, v183, v185
	ds_write2_b32 v180, v208, v177 offset0:52 offset1:142
	v_sub_f16_e32 v177, v217, v216
	v_add_f16_e32 v183, v203, v198
	v_pack_b32_f16 v24, v24, v177
	v_mov_b32_e32 v177, 0x21c
	ds_write2_b32 v181, v24, v1 offset0:104 offset1:194
	v_add_f16_e32 v1, v195, v184
	v_add_f16_e32 v24, v184, v191
	v_mul_u32_u24_sdwa v177, v179, v177 dst_sel:DWORD dst_unused:UNUSED_PAD src0_sel:WORD_0 src1_sel:DWORD
	v_mul_f16_e32 v179, 0x3aee, v204
	v_mul_f16_e32 v184, 0xbaee, v202
	v_add_f16_e32 v1, v1, v191
	v_fmac_f16_e32 v195, -0.5, v24
	v_add_f16_e32 v24, v196, v185
	v_add_lshl_u32 v177, v177, v182, 2
	v_fmac_f16_e32 v179, 0.5, v202
	v_add_f16_e32 v185, v1, v183
	v_fmac_f16_e32 v184, 0.5, v204
	v_add_f16_e32 v182, v24, v49
	v_sub_f16_e32 v24, v24, v49
	v_add_f16_e32 v191, v197, v179
	v_sub_f16_e32 v1, v1, v183
	v_lshrrev_b32_e32 v183, 16, v169
	v_pack_b32_f16 v182, v182, v185
	v_fmamk_f16 v185, v178, 0xbaee, v195
	v_fmac_f16_e32 v195, 0x3aee, v178
	v_pack_b32_f16 v1, v24, v1
	v_add_nc_u32_e32 v178, 0x200, v177
	v_add_f16_e32 v196, v185, v184
	v_sub_f16_e32 v24, v185, v184
	v_pack_b32_f16 v191, v191, v196
	ds_write2_b32 v177, v182, v191 offset1:90
	v_mul_f16_e32 v182, -0.5, v199
	v_fmac_f16_e32 v182, 0xbaee, v200
	v_lshrrev_b32_e32 v200, 16, v46
	v_add_f16_e32 v49, v195, v182
	v_pack_b32_f16 v49, v205, v49
	ds_write2_b32 v178, v49, v1 offset0:52 offset1:142
	v_sub_f16_e32 v1, v197, v179
	v_sub_f16_e32 v49, v195, v182
	v_add_nc_u32_e32 v179, 0x400, v177
	v_lshrrev_b32_e32 v197, 16, v174
	v_lshrrev_b32_e32 v195, 16, v44
	v_pack_b32_f16 v1, v1, v24
	v_pack_b32_f16 v24, v206, v49
	ds_write2_b32 v179, v1, v24 offset0:104 offset1:194
	v_lshrrev_b32_e32 v1, 16, v171
	v_mul_f16_sdwa v201, v200, v168 dst_sel:DWORD dst_unused:UNUSED_PAD src0_sel:DWORD src1_sel:WORD_1
	v_mul_f16_sdwa v184, v183, v170 dst_sel:DWORD dst_unused:UNUSED_PAD src0_sel:DWORD src1_sel:WORD_1
	;; [unrolled: 1-line block ×6, first 2 shown]
	v_fma_f16 v184, v169, v170, -v184
	v_mul_f16_sdwa v169, v169, v170 dst_sel:DWORD dst_unused:UNUSED_PAD src0_sel:DWORD src1_sel:WORD_1
	v_fma_f16 v24, v171, v40, -v24
	v_lshrrev_b32_e32 v171, 16, v50
	v_fmac_f16_e32 v198, v197, v43
	v_mul_f16_sdwa v197, v197, v43 dst_sel:DWORD dst_unused:UNUSED_PAD src0_sel:DWORD src1_sel:WORD_1
	v_fmac_f16_e32 v169, v183, v170
	v_lshrrev_b32_e32 v183, 16, v172
	v_mul_f16_sdwa v182, v171, v42 dst_sel:DWORD dst_unused:UNUSED_PAD src0_sel:DWORD src1_sel:WORD_1
	v_fmac_f16_e32 v49, v1, v40
	v_lshrrev_b32_e32 v1, 16, v48
	v_fma_f16 v174, v174, v43, -v197
	v_fmac_f16_e32 v185, v183, v41
	v_mul_f16_sdwa v183, v183, v41 dst_sel:DWORD dst_unused:UNUSED_PAD src0_sel:DWORD src1_sel:WORD_1
	v_fma_f16 v182, v50, v42, -v182
	v_mul_f16_sdwa v50, v50, v42 dst_sel:DWORD dst_unused:UNUSED_PAD src0_sel:DWORD src1_sel:WORD_1
	v_lshrrev_b32_e32 v197, 16, v175
	v_mul_f16_sdwa v196, v195, v34 dst_sel:DWORD dst_unused:UNUSED_PAD src0_sel:DWORD src1_sel:WORD_1
	v_fma_f16 v172, v172, v41, -v183
	v_lshrrev_b32_e32 v183, 16, v173
	v_fmac_f16_e32 v50, v171, v42
	v_mul_f16_sdwa v171, v1, v32 dst_sel:DWORD dst_unused:UNUSED_PAD src0_sel:DWORD src1_sel:WORD_1
	v_mul_f16_sdwa v199, v197, v35 dst_sel:DWORD dst_unused:UNUSED_PAD src0_sel:DWORD src1_sel:WORD_1
	v_fma_f16 v196, v44, v34, -v196
	v_mul_f16_sdwa v191, v183, v33 dst_sel:DWORD dst_unused:UNUSED_PAD src0_sel:DWORD src1_sel:WORD_1
	v_mul_f16_sdwa v44, v44, v34 dst_sel:DWORD dst_unused:UNUSED_PAD src0_sel:DWORD src1_sel:WORD_1
	v_fma_f16 v171, v48, v32, -v171
	v_mul_f16_sdwa v48, v48, v32 dst_sel:DWORD dst_unused:UNUSED_PAD src0_sel:DWORD src1_sel:WORD_1
	v_fma_f16 v199, v175, v35, -v199
	v_fma_f16 v191, v173, v33, -v191
	v_mul_f16_sdwa v173, v173, v33 dst_sel:DWORD dst_unused:UNUSED_PAD src0_sel:DWORD src1_sel:WORD_1
	v_mul_f16_sdwa v175, v175, v35 dst_sel:DWORD dst_unused:UNUSED_PAD src0_sel:DWORD src1_sel:WORD_1
	v_fmac_f16_e32 v48, v1, v32
	v_fma_f16 v201, v46, v168, -v201
	v_add_f16_e32 v1, v191, v199
	v_fmac_f16_e32 v173, v183, v33
	v_fmac_f16_e32 v175, v197, v35
	v_mul_f16_sdwa v46, v46, v168 dst_sel:DWORD dst_unused:UNUSED_PAD src0_sel:DWORD src1_sel:WORD_1
	v_fmac_f16_e32 v44, v195, v34
	v_lshrrev_b32_e32 v195, 16, v27
	v_add_f16_e32 v197, v27, v191
	v_fmac_f16_e32 v27, -0.5, v1
	v_sub_f16_e32 v1, v173, v175
	v_fmac_f16_e32 v46, v200, v168
	v_add_f16_e32 v202, v171, v196
	v_add_f16_e32 v183, v172, v174
	;; [unrolled: 1-line block ×3, first 2 shown]
	v_fmamk_f16 v200, v1, 0x3aee, v27
	v_fmac_f16_e32 v27, 0xbaee, v1
	v_add_f16_e32 v1, v196, v201
	v_fma_f16 v204, -0.5, v183, v26
	v_fmac_f16_e32 v171, -0.5, v1
	v_sub_f16_e32 v1, v44, v46
	v_fmamk_f16 v203, v1, 0x3aee, v171
	v_fmac_f16_e32 v171, 0xbaee, v1
	v_add_f16_e32 v1, v44, v46
	v_add_f16_e32 v44, v48, v44
	v_fmac_f16_e32 v48, -0.5, v1
	v_sub_f16_e32 v1, v196, v201
	v_add_f16_e32 v44, v44, v46
	v_fmamk_f16 v196, v1, 0xbaee, v48
	v_fmac_f16_e32 v48, 0x3aee, v1
	v_mul_f16_e32 v1, -0.5, v171
	v_mul_f16_e32 v46, 0x3aee, v196
	v_fmac_f16_e32 v1, 0x3aee, v48
	v_fmac_f16_e32 v46, 0.5, v203
	v_add_f16_e32 v205, v27, v1
	v_sub_f16_e32 v1, v27, v1
	v_lshrrev_b32_e32 v27, 16, v26
	v_add_f16_e32 v26, v26, v172
	v_sub_f16_e32 v172, v172, v174
	v_add_f16_e32 v183, v27, v185
	v_fmac_f16_e32 v27, -0.5, v206
	v_add_f16_e32 v26, v26, v174
	v_add_f16_e32 v174, v50, v169
	v_add_f16_e32 v206, v182, v184
	v_sub_f16_e32 v185, v185, v198
	v_add_f16_e32 v198, v183, v198
	v_add_f16_e32 v183, v49, v50
	v_fmac_f16_e32 v49, -0.5, v174
	v_add_f16_e32 v174, v24, v182
	v_sub_f16_e32 v182, v182, v184
	v_fmac_f16_e32 v24, -0.5, v206
	v_sub_f16_e32 v50, v50, v169
	v_add_f16_e32 v169, v183, v169
	v_add_f16_e32 v174, v174, v184
	v_fmamk_f16 v183, v182, 0xbaee, v49
	v_fmac_f16_e32 v49, 0x3aee, v182
	v_fmamk_f16 v184, v50, 0x3aee, v24
	v_fmac_f16_e32 v24, 0xbaee, v50
	v_lshlrev_b32_sdwa v182, v25, v0 dst_sel:DWORD dst_unused:UNUSED_PAD src0_sel:DWORD src1_sel:WORD_0
	v_mul_f16_e32 v206, 0x3aee, v183
	v_mul_f16_e32 v0, -0.5, v48
	v_mul_f16_e32 v207, 0xbaee, v184
	v_mul_f16_e32 v50, -0.5, v24
	v_fmac_f16_e32 v206, 0.5, v184
	v_add_f16_e32 v184, v26, v174
	v_fmac_f16_e32 v207, 0.5, v183
	v_mad_u16 v183, 0x21c, v192, v193
	v_add_f16_e32 v192, v198, v169
	v_fmamk_f16 v193, v172, 0xbaee, v27
	v_fmac_f16_e32 v50, 0x3aee, v49
	v_mul_f16_e32 v49, -0.5, v49
	v_fmac_f16_e32 v27, 0x3aee, v172
	v_pack_b32_f16 v184, v184, v192
	v_fmamk_f16 v192, v185, 0x3aee, v204
	v_add_f16_e32 v209, v193, v207
	v_fmac_f16_e32 v204, 0xbaee, v185
	v_fmac_f16_e32 v49, 0xbaee, v24
	v_lshlrev_b32_sdwa v183, v25, v183 dst_sel:DWORD dst_unused:UNUSED_PAD src0_sel:DWORD src1_sel:WORD_0
	v_add_f16_e32 v208, v192, v206
	v_sub_f16_e32 v24, v26, v174
	v_sub_f16_e32 v26, v198, v169
	v_add_f16_e32 v169, v204, v50
	v_add_f16_e32 v172, v27, v49
	v_pack_b32_f16 v208, v208, v209
	v_sub_f16_e32 v27, v27, v49
	v_pack_b32_f16 v24, v24, v26
	v_sub_f16_e32 v26, v204, v50
	v_pack_b32_f16 v169, v169, v172
	ds_write2_b32 v183, v184, v208 offset1:90
	v_add_nc_u32_e32 v184, 0x200, v183
	v_sub_f16_e32 v50, v193, v207
	v_pack_b32_f16 v26, v26, v27
	v_add_nc_u32_e32 v185, 0x400, v183
	v_add_f16_e32 v49, v202, v201
	ds_write2_b32 v184, v169, v24 offset0:52 offset1:142
	v_sub_f16_e32 v24, v192, v206
	v_sub_f16_e32 v27, v191, v199
	v_fmac_f16_e32 v0, 0xbaee, v171
	v_lshlrev_b32_sdwa v171, v25, v12 dst_sel:DWORD dst_unused:UNUSED_PAD src0_sel:DWORD src1_sel:WORD_0
	v_pack_b32_f16 v24, v24, v50
	v_mul_f16_e32 v50, 0xbaee, v203
	ds_write2_b32 v185, v24, v26 offset0:104 offset1:194
	v_add_f16_e32 v24, v195, v173
	v_add_f16_e32 v26, v173, v175
	v_fmac_f16_e32 v50, 0.5, v196
	v_add_f16_e32 v173, v200, v46
	v_add_f16_e32 v24, v24, v175
	v_fmac_f16_e32 v195, -0.5, v26
	v_add_f16_e32 v26, v197, v199
	v_add_nc_u32_e32 v175, 0x400, v182
	v_add_f16_e32 v172, v24, v44
	v_sub_f16_e32 v24, v24, v44
	v_add_f16_e32 v169, v26, v49
	v_sub_f16_e32 v26, v26, v49
	v_pack_b32_f16 v169, v169, v172
	v_fmamk_f16 v172, v27, 0xbaee, v195
	v_fmac_f16_e32 v195, 0x3aee, v27
	v_pack_b32_f16 v24, v26, v24
	v_add_f16_e32 v174, v172, v50
	v_add_f16_e32 v27, v195, v0
	v_sub_f16_e32 v26, v172, v50
	v_sub_f16_e32 v0, v195, v0
	v_add_nc_u32_e32 v172, 0x200, v171
	v_pack_b32_f16 v173, v173, v174
	v_pack_b32_f16 v27, v205, v27
	v_add_nc_u32_e32 v174, 0x200, v182
	v_pack_b32_f16 v0, v1, v0
	v_add_f16_e32 v1, v14, v28
	ds_write2_b32 v182, v169, v173 offset1:90
	v_add_nc_u32_e32 v173, 0x400, v171
	ds_write2_b32 v174, v27, v24 offset0:52 offset1:142
	v_sub_f16_e32 v24, v200, v46
	v_add_f16_e32 v27, v31, v13
	v_pack_b32_f16 v24, v24, v26
	v_mul_f16_e32 v26, 0xbaee, v162
	ds_write2_b32 v175, v24, v0 offset0:104 offset1:194
	v_add_f16_e32 v0, v30, v14
	v_fmac_f16_e32 v30, -0.5, v1
	v_add_f16_e32 v1, v51, v29
	v_sub_f16_e32 v14, v15, v29
	v_add_f16_e32 v15, v136, v45
	v_add_f16_e32 v0, v0, v28
	;; [unrolled: 1-line block ×3, first 2 shown]
	v_fmac_f16_e32 v26, 0.5, v188
	v_add_f16_e32 v12, v1, v15
	v_sub_f16_e32 v1, v1, v15
	v_add_f16_e32 v25, v0, v24
	v_sub_f16_e32 v0, v0, v24
	v_pack_b32_f16 v12, v12, v25
	v_fmamk_f16 v25, v14, 0xbaee, v30
	v_fmac_f16_e32 v30, 0x3aee, v14
	v_pack_b32_f16 v0, v1, v0
	v_add_f16_e32 v28, v25, v26
	v_sub_f16_e32 v1, v25, v26
	v_pack_b32_f16 v27, v27, v28
	ds_write2_b32 v171, v12, v27 offset1:90
	v_mul_f16_e32 v12, -0.5, v94
	v_fmac_f16_e32 v12, 0xbaee, v47
	v_add_f16_e32 v14, v30, v12
	v_sub_f16_e32 v12, v30, v12
	v_pack_b32_f16 v14, v190, v14
	ds_write2_b32 v172, v14, v0 offset0:52 offset1:142
	v_sub_f16_e32 v0, v31, v13
	v_pack_b32_f16 v0, v0, v1
	v_pack_b32_f16 v1, v2, v12
	v_mad_u64_u32 v[12:13], null, v125, 20, s[2:3]
	s_mul_i32 s3, s8, 0x10e0
	ds_write2_b32 v173, v0, v1 offset0:104 offset1:194
	s_waitcnt lgkmcnt(0)
	s_barrier
	buffer_gl0_inv
	v_add_co_u32 v24, vcc_lo, 0x800, v12
	v_add_co_ci_u32_e32 v25, vcc_lo, 0, v13, vcc_lo
	v_add_co_u32 v26, vcc_lo, 0x1000, v12
	v_add_co_ci_u32_e32 v27, vcc_lo, 0, v13, vcc_lo
	;; [unrolled: 2-line block ×5, first 2 shown]
	ds_read2_b32 v[48:49], v111 offset0:104 offset1:212
	s_clause 0x1
	global_load_dword v169, v[12:13], off offset:564
	global_load_dwordx4 v[12:15], v[12:13], off offset:548
	ds_read2_b32 v[50:51], v116 offset0:32 offset1:140
	ds_read2_b32 v[190:191], v95 offset0:48 offset1:156
	;; [unrolled: 1-line block ×5, first 2 shown]
	s_waitcnt lgkmcnt(5)
	v_lshrrev_b32_e32 v0, 16, v48
	s_waitcnt lgkmcnt(4)
	v_lshrrev_b32_e32 v1, 16, v50
	s_waitcnt lgkmcnt(1)
	v_lshrrev_b32_e32 v29, 16, v199
	s_waitcnt lgkmcnt(0)
	v_lshrrev_b32_e32 v30, 16, v201
	v_lshrrev_b32_e32 v236, 16, v200
	s_waitcnt vmcnt(1)
	v_mul_f16_sdwa v94, v199, v169 dst_sel:DWORD dst_unused:UNUSED_PAD src0_sel:DWORD src1_sel:WORD_1
	s_waitcnt vmcnt(0)
	v_mul_f16_sdwa v192, v48, v13 dst_sel:DWORD dst_unused:UNUSED_PAD src0_sel:DWORD src1_sel:WORD_1
	v_mul_f16_sdwa v194, v50, v15 dst_sel:DWORD dst_unused:UNUSED_PAD src0_sel:DWORD src1_sel:WORD_1
	;; [unrolled: 1-line block ×4, first 2 shown]
	v_fmac_f16_e32 v94, v29, v169
	v_fmac_f16_e32 v192, v0, v13
	v_mul_f16_sdwa v0, v0, v13 dst_sel:DWORD dst_unused:UNUSED_PAD src0_sel:DWORD src1_sel:WORD_1
	v_fmac_f16_e32 v194, v1, v15
	v_mul_f16_sdwa v1, v1, v15 dst_sel:DWORD dst_unused:UNUSED_PAD src0_sel:DWORD src1_sel:WORD_1
	v_mul_f16_sdwa v29, v29, v169 dst_sel:DWORD dst_unused:UNUSED_PAD src0_sel:DWORD src1_sel:WORD_1
	v_fmac_f16_e32 v136, v30, v12
	v_fma_f16 v193, v48, v13, -v0
	v_mul_f16_sdwa v30, v30, v12 dst_sel:DWORD dst_unused:UNUSED_PAD src0_sel:DWORD src1_sel:WORD_1
	v_fma_f16 v195, v50, v15, -v1
	v_lshrrev_b32_e32 v1, 16, v190
	v_fma_f16 v162, v199, v169, -v29
	v_add_f16_e32 v2, v190, v193
	v_lshrrev_b32_e32 v48, 16, v191
	v_add_f16_e32 v0, v193, v195
	v_add_f16_e32 v2, v2, v195
	v_fmac_f16_e32 v190, -0.5, v0
	v_sub_f16_e32 v0, v192, v194
	v_fmamk_f16 v64, v0, 0x3aee, v190
	v_fmac_f16_e32 v190, 0xbaee, v0
	v_lshrrev_b32_e32 v0, 16, v197
	v_fmac_f16_e32 v28, v0, v14
	v_mul_f16_sdwa v0, v0, v14 dst_sel:DWORD dst_unused:UNUSED_PAD src0_sel:DWORD src1_sel:WORD_1
	v_add_f16_e32 v212, v136, v28
	v_fma_f16 v0, v197, v14, -v0
	v_fma_f16 v197, v201, v12, -v30
	v_add_f16_e32 v29, v0, v162
	v_add_f16_e32 v199, v197, v0
	v_sub_f16_e32 v0, v0, v162
	v_fmac_f16_e32 v197, -0.5, v29
	v_sub_f16_e32 v29, v28, v94
	v_add_f16_e32 v162, v199, v162
	v_fmamk_f16 v211, v29, 0x3aee, v197
	v_fmac_f16_e32 v197, 0xbaee, v29
	v_add_f16_e32 v29, v28, v94
	v_add_f16_e32 v94, v212, v94
	;; [unrolled: 1-line block ×3, first 2 shown]
	v_sub_f16_e32 v2, v2, v162
	v_fmac_f16_e32 v136, -0.5, v29
	s_clause 0x1
	global_load_dword v187, v[24:25], off offset:116
	global_load_dwordx4 v[28:31], v[24:25], off offset:100
	v_fmamk_f16 v213, v0, 0xbaee, v136
	v_fmac_f16_e32 v136, 0x3aee, v0
	v_mul_f16_e32 v0, -0.5, v197
	v_fmac_f16_e32 v0, 0x3aee, v136
	v_mul_f16_e32 v136, -0.5, v136
	v_add_f16_e32 v214, v190, v0
	v_sub_f16_e32 v0, v190, v0
	v_lshrrev_b32_e32 v190, 16, v49
	v_fmac_f16_e32 v136, 0xbaee, v197
	s_waitcnt vmcnt(0)
	v_mul_f16_sdwa v24, v48, v28 dst_sel:DWORD dst_unused:UNUSED_PAD src0_sel:DWORD src1_sel:WORD_1
	v_mul_f16_sdwa v205, v191, v28 dst_sel:DWORD dst_unused:UNUSED_PAD src0_sel:DWORD src1_sel:WORD_1
	;; [unrolled: 1-line block ×3, first 2 shown]
	v_fma_f16 v50, v191, v28, -v24
	v_mul_f16_sdwa v24, v190, v30 dst_sel:DWORD dst_unused:UNUSED_PAD src0_sel:DWORD src1_sel:WORD_1
	v_fmac_f16_e32 v205, v48, v28
	v_lshrrev_b32_e32 v191, 16, v51
	v_fmac_f16_e32 v207, v190, v30
	v_fma_f16 v206, v49, v30, -v24
	ds_read2_b32 v[48:49], v132 offset0:56 offset1:164
	v_mul_f16_sdwa v24, v191, v187 dst_sel:DWORD dst_unused:UNUSED_PAD src0_sel:DWORD src1_sel:WORD_1
	v_fma_f16 v208, v51, v187, -v24
	v_mul_f16_sdwa v51, v51, v187 dst_sel:DWORD dst_unused:UNUSED_PAD src0_sel:DWORD src1_sel:WORD_1
	v_fmac_f16_e32 v51, v191, v187
	s_waitcnt lgkmcnt(0)
	v_lshrrev_b32_e32 v24, 16, v48
	v_mul_f16_sdwa v209, v48, v29 dst_sel:DWORD dst_unused:UNUSED_PAD src0_sel:DWORD src1_sel:WORD_1
	v_lshrrev_b32_e32 v201, 16, v49
	v_fmac_f16_e32 v209, v24, v29
	v_mul_f16_sdwa v24, v24, v29 dst_sel:DWORD dst_unused:UNUSED_PAD src0_sel:DWORD src1_sel:WORD_1
	v_fma_f16 v210, v48, v29, -v24
	s_clause 0x1
	global_load_dword v188, v[26:27], off offset:228
	global_load_dwordx4 v[24:27], v[26:27], off offset:212
	s_waitcnt vmcnt(0)
	v_mul_f16_sdwa v48, v201, v25 dst_sel:DWORD dst_unused:UNUSED_PAD src0_sel:DWORD src1_sel:WORD_1
	v_mul_f16_sdwa v216, v49, v25 dst_sel:DWORD dst_unused:UNUSED_PAD src0_sel:DWORD src1_sel:WORD_1
	v_fma_f16 v215, v49, v25, -v48
	ds_read2_b32 v[48:49], v131 offset0:112 offset1:220
	v_fmac_f16_e32 v216, v201, v25
	s_waitcnt lgkmcnt(0)
	v_lshrrev_b32_e32 v202, 16, v48
	v_mul_f16_sdwa v219, v48, v31 dst_sel:DWORD dst_unused:UNUSED_PAD src0_sel:DWORD src1_sel:WORD_1
	v_mul_f16_sdwa v220, v49, v27 dst_sel:DWORD dst_unused:UNUSED_PAD src0_sel:DWORD src1_sel:WORD_1
	;; [unrolled: 1-line block ×3, first 2 shown]
	v_fmac_f16_e32 v219, v202, v31
	v_fma_f16 v217, v48, v31, -v203
	v_lshrrev_b32_e32 v203, 16, v49
	v_add_f16_e32 v230, v210, v217
	v_mul_f16_sdwa v204, v203, v27 dst_sel:DWORD dst_unused:UNUSED_PAD src0_sel:DWORD src1_sel:WORD_1
	v_fmac_f16_e32 v220, v203, v27
	v_fma_f16 v218, v49, v27, -v204
	ds_read2_b32 v[48:49], v130 offset1:108
	v_add_f16_e32 v190, v215, v218
	s_waitcnt lgkmcnt(0)
	v_lshrrev_b32_e32 v221, 16, v49
	v_add_f16_e32 v222, v49, v215
	v_fmac_f16_e32 v49, -0.5, v190
	v_sub_f16_e32 v190, v216, v220
	v_fma_f16 v230, -0.5, v230, v48
	v_sub_f16_e32 v215, v215, v218
	v_fmamk_f16 v223, v190, 0x3aee, v49
	v_fmac_f16_e32 v49, 0xbaee, v190
	ds_read2_b32 v[190:191], v91 offset0:64 offset1:172
	s_waitcnt lgkmcnt(0)
	v_lshrrev_b32_e32 v201, 16, v190
	v_mul_f16_sdwa v224, v190, v26 dst_sel:DWORD dst_unused:UNUSED_PAD src0_sel:DWORD src1_sel:WORD_1
	v_mul_f16_sdwa v225, v201, v26 dst_sel:DWORD dst_unused:UNUSED_PAD src0_sel:DWORD src1_sel:WORD_1
	v_fmac_f16_e32 v224, v201, v26
	ds_read2_b32 v[201:202], v93 offset0:120 offset1:228
	v_fma_f16 v190, v190, v26, -v225
	s_waitcnt lgkmcnt(0)
	v_lshrrev_b32_e32 v203, 16, v201
	v_mul_f16_sdwa v226, v201, v188 dst_sel:DWORD dst_unused:UNUSED_PAD src0_sel:DWORD src1_sel:WORD_1
	v_lshrrev_b32_e32 v234, 16, v202
	v_mul_f16_sdwa v227, v203, v188 dst_sel:DWORD dst_unused:UNUSED_PAD src0_sel:DWORD src1_sel:WORD_1
	v_fmac_f16_e32 v226, v203, v188
	ds_read2_b32 v[203:204], v105 offset0:136 offset1:244
	v_fma_f16 v201, v201, v188, -v227
	v_add_f16_e32 v225, v190, v201
	s_waitcnt lgkmcnt(0)
	v_lshrrev_b32_e32 v228, 16, v203
	v_mul_f16_sdwa v229, v203, v24 dst_sel:DWORD dst_unused:UNUSED_PAD src0_sel:DWORD src1_sel:WORD_1
	v_fmac_f16_e32 v229, v228, v24
	v_mul_f16_sdwa v228, v228, v24 dst_sel:DWORD dst_unused:UNUSED_PAD src0_sel:DWORD src1_sel:WORD_1
	v_fma_f16 v203, v203, v24, -v228
	v_add_f16_e32 v227, v203, v190
	v_fmac_f16_e32 v203, -0.5, v225
	v_sub_f16_e32 v225, v224, v226
	v_sub_f16_e32 v190, v190, v201
	v_add_f16_e32 v201, v227, v201
	v_lshrrev_b32_e32 v227, 16, v191
	v_fmamk_f16 v228, v225, 0x3aee, v203
	v_fmac_f16_e32 v203, 0xbaee, v225
	v_add_f16_e32 v225, v224, v226
	v_add_f16_e32 v224, v229, v224
	v_fmac_f16_e32 v229, -0.5, v225
	v_fmamk_f16 v225, v190, 0xbaee, v229
	v_fmac_f16_e32 v229, 0x3aee, v190
	v_mul_f16_e32 v190, -0.5, v203
	v_fmac_f16_e32 v190, 0x3aee, v229
	v_add_f16_e32 v231, v49, v190
	v_sub_f16_e32 v232, v49, v190
	v_lshrrev_b32_e32 v49, 16, v48
	v_add_f16_e32 v190, v209, v219
	v_add_f16_e32 v48, v48, v210
	;; [unrolled: 1-line block ×3, first 2 shown]
	v_fmac_f16_e32 v49, -0.5, v190
	v_sub_f16_e32 v190, v210, v217
	v_add_f16_e32 v48, v48, v217
	v_sub_f16_e32 v209, v209, v219
	v_fmamk_f16 v217, v190, 0xbaee, v49
	v_fmac_f16_e32 v49, 0x3aee, v190
	v_add_f16_e32 v190, v206, v208
	v_fmamk_f16 v210, v209, 0x3aee, v230
	v_fmac_f16_e32 v230, 0xbaee, v209
	v_add_f16_e32 v209, v233, v219
	v_add_f16_e32 v219, v50, v206
	v_fmac_f16_e32 v50, -0.5, v190
	v_add_f16_e32 v190, v207, v51
	v_add_f16_e32 v233, v205, v207
	v_sub_f16_e32 v206, v206, v208
	v_sub_f16_e32 v207, v207, v51
	v_fmac_f16_e32 v205, -0.5, v190
	v_add_f16_e32 v190, v219, v208
	v_add_f16_e32 v51, v233, v51
	v_fmamk_f16 v208, v207, 0x3aee, v50
	v_fmac_f16_e32 v50, 0xbaee, v207
	v_fmamk_f16 v207, v206, 0xbaee, v205
	v_fmac_f16_e32 v205, 0x3aee, v206
	v_add_f16_e32 v219, v209, v51
	v_sub_f16_e32 v51, v209, v51
	v_mul_f16_e32 v206, 0x3aee, v207
	v_fmac_f16_e32 v206, 0.5, v208
	v_mul_f16_e32 v208, 0xbaee, v208
	v_fmac_f16_e32 v208, 0.5, v207
	v_mul_f16_e32 v207, -0.5, v50
	v_add_f16_e32 v209, v217, v208
	v_fmac_f16_e32 v207, 0x3aee, v205
	v_mul_f16_e32 v205, -0.5, v205
	v_sub_f16_e32 v208, v217, v208
	v_fmac_f16_e32 v205, 0xbaee, v50
	v_add_f16_e32 v50, v48, v190
	v_sub_f16_e32 v48, v48, v190
	v_add_f16_e32 v190, v210, v206
	v_sub_f16_e32 v206, v210, v206
	v_add_f16_e32 v210, v230, v207
	v_add_f16_e32 v217, v49, v205
	v_sub_f16_e32 v49, v49, v205
	v_pack_b32_f16 v190, v190, v209
	v_pack_b32_f16 v50, v50, v219
	v_add_f16_e32 v219, v222, v218
	v_pack_b32_f16 v205, v210, v217
	ds_write_b32 v130, v190 offset:2160
	ds_write_b32 v130, v205 offset:4320
	v_add_f16_e32 v190, v221, v216
	v_add_f16_e32 v217, v224, v226
	v_sub_f16_e32 v207, v230, v207
	v_pack_b32_f16 v48, v48, v51
	v_pack_b32_f16 v51, v206, v208
	v_add_f16_e32 v222, v190, v220
	v_add_f16_e32 v190, v219, v201
	v_pack_b32_f16 v49, v207, v49
	v_lshrrev_b32_e32 v224, 16, v204
	v_add_f16_e32 v216, v216, v220
	v_add_f16_e32 v205, v222, v217
	v_lshrrev_b32_e32 v220, 16, v198
	v_mul_f16_e32 v218, 0xbaee, v228
	v_sub_f16_e32 v201, v219, v201
	v_fmac_f16_e32 v221, -0.5, v216
	v_pack_b32_f16 v190, v190, v205
	ds_read2_b32 v[205:206], v124 offset0:88 offset1:196
	ds_read2_b32 v[207:208], v121 offset0:16 offset1:124
	;; [unrolled: 1-line block ×3, first 2 shown]
	ds_write_b32 v130, v48 offset:6480
	ds_write_b32 v130, v51 offset:8640
	;; [unrolled: 1-line block ×3, first 2 shown]
	ds_write2_b32 v130, v50, v190 offset1:108
	s_clause 0x1
	global_load_dword v190, v[44:45], off offset:340
	global_load_dwordx4 v[48:51], v[44:45], off offset:324
	v_fmamk_f16 v216, v215, 0xbaee, v221
	v_fmac_f16_e32 v221, 0x3aee, v215
	v_mul_f16_e32 v215, 0x3aee, v225
	v_fmac_f16_e32 v218, 0.5, v225
	v_fmac_f16_e32 v215, 0.5, v228
	s_waitcnt lgkmcnt(4)
	v_lshrrev_b32_e32 v239, 16, v209
	s_waitcnt vmcnt(0)
	v_mul_f16_sdwa v44, v224, v48 dst_sel:DWORD dst_unused:UNUSED_PAD src0_sel:DWORD src1_sel:WORD_1
	v_mul_f16_sdwa v233, v191, v50 dst_sel:DWORD dst_unused:UNUSED_PAD src0_sel:DWORD src1_sel:WORD_1
	;; [unrolled: 1-line block ×3, first 2 shown]
	v_fma_f16 v226, v204, v48, -v44
	v_mul_f16_sdwa v44, v227, v50 dst_sel:DWORD dst_unused:UNUSED_PAD src0_sel:DWORD src1_sel:WORD_1
	v_mul_f16_sdwa v204, v204, v48 dst_sel:DWORD dst_unused:UNUSED_PAD src0_sel:DWORD src1_sel:WORD_1
	v_fmac_f16_e32 v233, v227, v50
	v_mul_f16_sdwa v227, v207, v49 dst_sel:DWORD dst_unused:UNUSED_PAD src0_sel:DWORD src1_sel:WORD_1
	v_fmac_f16_e32 v240, v239, v51
	v_fma_f16 v230, v191, v50, -v44
	v_mul_f16_sdwa v44, v234, v190 dst_sel:DWORD dst_unused:UNUSED_PAD src0_sel:DWORD src1_sel:WORD_1
	v_fmac_f16_e32 v204, v224, v48
	v_lshrrev_b32_e32 v224, 16, v207
	v_mul_f16_sdwa v239, v239, v51 dst_sel:DWORD dst_unused:UNUSED_PAD src0_sel:DWORD src1_sel:WORD_1
	v_add_f16_e32 v246, v226, v230
	v_fma_f16 v235, v202, v190, -v44
	s_clause 0x1
	global_load_dword v191, v[46:47], off offset:452
	global_load_dwordx4 v[44:47], v[46:47], off offset:436
	v_fmac_f16_e32 v227, v224, v49
	v_mul_f16_sdwa v224, v224, v49 dst_sel:DWORD dst_unused:UNUSED_PAD src0_sel:DWORD src1_sel:WORD_1
	v_mul_f16_sdwa v202, v202, v190 dst_sel:DWORD dst_unused:UNUSED_PAD src0_sel:DWORD src1_sel:WORD_1
	v_fma_f16 v209, v209, v51, -v239
	v_lshrrev_b32_e32 v239, 16, v210
	v_add_f16_e32 v244, v227, v240
	v_fma_f16 v207, v207, v49, -v224
	v_lshrrev_b32_e32 v224, 16, v208
	v_fmac_f16_e32 v202, v234, v190
	v_add_f16_e32 v247, v204, v233
	s_waitcnt vmcnt(1)
	v_mul_f16_sdwa v242, v220, v191 dst_sel:DWORD dst_unused:UNUSED_PAD src0_sel:DWORD src1_sel:WORD_1
	s_waitcnt vmcnt(0)
	v_mul_f16_sdwa v237, v236, v44 dst_sel:DWORD dst_unused:UNUSED_PAD src0_sel:DWORD src1_sel:WORD_1
	v_mul_f16_sdwa v234, v224, v45 dst_sel:DWORD dst_unused:UNUSED_PAD src0_sel:DWORD src1_sel:WORD_1
	;; [unrolled: 1-line block ×3, first 2 shown]
	v_fma_f16 v242, v198, v191, -v242
	v_fma_f16 v237, v200, v44, -v237
	v_mul_f16_sdwa v200, v200, v44 dst_sel:DWORD dst_unused:UNUSED_PAD src0_sel:DWORD src1_sel:WORD_1
	v_mul_f16_sdwa v198, v198, v191 dst_sel:DWORD dst_unused:UNUSED_PAD src0_sel:DWORD src1_sel:WORD_1
	v_fma_f16 v234, v208, v45, -v234
	v_mul_f16_sdwa v208, v208, v45 dst_sel:DWORD dst_unused:UNUSED_PAD src0_sel:DWORD src1_sel:WORD_1
	v_fma_f16 v241, v210, v47, -v241
	v_fmac_f16_e32 v200, v236, v44
	v_lshrrev_b32_e32 v236, 16, v196
	v_mul_f16_sdwa v210, v210, v47 dst_sel:DWORD dst_unused:UNUSED_PAD src0_sel:DWORD src1_sel:WORD_1
	v_fmac_f16_e32 v198, v220, v191
	v_mul_f16_e32 v220, -0.5, v229
	v_fmac_f16_e32 v208, v224, v45
	v_mul_f16_sdwa v238, v236, v46 dst_sel:DWORD dst_unused:UNUSED_PAD src0_sel:DWORD src1_sel:WORD_1
	v_fmac_f16_e32 v210, v239, v47
	v_lshrrev_b32_e32 v224, 16, v206
	v_fmac_f16_e32 v220, 0xbaee, v203
	v_add_f16_e32 v203, v223, v215
	v_sub_f16_e32 v215, v223, v215
	v_add_f16_e32 v223, v216, v218
	v_sub_f16_e32 v216, v216, v218
	v_add_f16_e32 v218, v234, v241
	v_fma_f16 v238, v196, v46, -v238
	v_mul_f16_sdwa v196, v196, v46 dst_sel:DWORD dst_unused:UNUSED_PAD src0_sel:DWORD src1_sel:WORD_1
	v_add_f16_e32 v225, v206, v234
	v_add_f16_e32 v239, v207, v209
	v_fmac_f16_e32 v206, -0.5, v218
	v_sub_f16_e32 v218, v208, v210
	v_fmac_f16_e32 v196, v236, v46
	v_add_f16_e32 v229, v237, v238
	v_fma_f16 v239, -0.5, v239, v205
	v_pack_b32_f16 v203, v203, v223
	v_fmamk_f16 v228, v218, 0x3aee, v206
	v_fmac_f16_e32 v206, 0xbaee, v218
	v_add_f16_e32 v218, v238, v242
	v_add_f16_e32 v223, v221, v220
	v_pack_b32_f16 v215, v215, v216
	v_sub_f16_e32 v216, v227, v240
	v_fmac_f16_e32 v237, -0.5, v218
	v_sub_f16_e32 v218, v196, v198
	v_pack_b32_f16 v223, v231, v223
	v_fmamk_f16 v236, v218, 0x3aee, v237
	v_fmac_f16_e32 v237, 0xbaee, v218
	v_add_f16_e32 v218, v196, v198
	v_add_f16_e32 v196, v200, v196
	v_fmac_f16_e32 v200, -0.5, v218
	v_sub_f16_e32 v218, v238, v242
	v_add_f16_e32 v196, v196, v198
	v_fmamk_f16 v238, v218, 0xbaee, v200
	v_fmac_f16_e32 v200, 0x3aee, v218
	v_mul_f16_e32 v218, -0.5, v237
	v_fmac_f16_e32 v218, 0x3aee, v200
	v_add_f16_e32 v243, v206, v218
	v_sub_f16_e32 v206, v206, v218
	v_lshrrev_b32_e32 v218, 16, v205
	v_add_f16_e32 v205, v205, v207
	v_sub_f16_e32 v207, v207, v209
	v_add_f16_e32 v245, v218, v227
	v_fmac_f16_e32 v218, -0.5, v244
	v_add_f16_e32 v244, v230, v235
	v_sub_f16_e32 v230, v230, v235
	v_fmamk_f16 v227, v216, 0x3aee, v239
	v_add_f16_e32 v205, v205, v209
	v_fmamk_f16 v231, v207, 0xbaee, v218
	v_fmac_f16_e32 v226, -0.5, v244
	v_add_f16_e32 v244, v233, v202
	v_sub_f16_e32 v233, v233, v202
	v_add_f16_e32 v209, v245, v240
	v_add_f16_e32 v202, v247, v202
	v_fmac_f16_e32 v239, 0xbaee, v216
	v_fmac_f16_e32 v204, -0.5, v244
	v_fmamk_f16 v248, v233, 0x3aee, v226
	v_fmac_f16_e32 v226, 0xbaee, v233
	v_fmac_f16_e32 v218, 0x3aee, v207
	v_fmamk_f16 v244, v230, 0xbaee, v204
	v_fmac_f16_e32 v204, 0x3aee, v230
	v_mul_f16_e32 v249, 0x3aee, v244
	v_fmac_f16_e32 v249, 0.5, v248
	v_mul_f16_e32 v248, 0xbaee, v248
	v_fmac_f16_e32 v248, 0.5, v244
	v_add_f16_e32 v244, v227, v249
	v_add_f16_e32 v250, v231, v248
	v_pack_b32_f16 v244, v244, v250
	ds_write_b32 v130, v223 offset:4752
	ds_write_b32 v130, v215 offset:9072
	ds_write2_b32 v105, v203, v244 offset0:136 offset1:244
	v_sub_f16_e32 v203, v222, v217
	v_add_f16_e32 v215, v246, v235
	v_sub_f16_e32 v217, v209, v202
	v_add_f16_e32 v202, v209, v202
	v_pack_b32_f16 v201, v201, v203
	v_sub_f16_e32 v203, v205, v215
	v_pack_b32_f16 v203, v203, v217
	ds_write2_b32 v91, v201, v203 offset0:64 offset1:172
	v_mul_f16_e32 v203, -0.5, v226
	v_sub_f16_e32 v201, v221, v220
	v_fmac_f16_e32 v203, 0x3aee, v204
	v_mul_f16_e32 v204, -0.5, v204
	v_pack_b32_f16 v201, v232, v201
	v_sub_f16_e32 v207, v239, v203
	v_fmac_f16_e32 v204, 0xbaee, v226
	v_add_f16_e32 v203, v239, v203
	v_sub_f16_e32 v216, v218, v204
	v_add_f16_e32 v204, v218, v204
	v_pack_b32_f16 v207, v207, v216
	ds_write2_b32 v93, v201, v207 offset0:120 offset1:228
	v_add_f16_e32 v201, v205, v215
	v_add_f16_e32 v205, v229, v242
	v_pack_b32_f16 v198, v201, v202
	v_add_f16_e32 v202, v224, v208
	v_add_f16_e32 v201, v225, v241
	;; [unrolled: 1-line block ×4, first 2 shown]
	v_sub_f16_e32 v201, v201, v205
	v_add_f16_e32 v209, v202, v196
	v_sub_f16_e32 v196, v202, v196
	v_mul_f16_e32 v202, 0x3aee, v238
	v_pack_b32_f16 v207, v207, v209
	v_pack_b32_f16 v196, v201, v196
	v_fmac_f16_e32 v202, 0.5, v236
	ds_write2_b32 v124, v198, v207 offset0:88 offset1:196
	v_add_f16_e32 v198, v208, v210
	v_sub_f16_e32 v201, v228, v202
	v_fmac_f16_e32 v224, -0.5, v198
	v_sub_f16_e32 v198, v234, v241
	v_fmamk_f16 v207, v198, 0xbaee, v224
	v_fmac_f16_e32 v224, 0x3aee, v198
	v_mul_f16_e32 v198, -0.5, v200
	v_pack_b32_f16 v200, v203, v204
	v_mul_f16_e32 v204, 0xbaee, v236
	v_fmac_f16_e32 v198, 0xbaee, v237
	v_fmac_f16_e32 v204, 0.5, v238
	v_add_f16_e32 v203, v224, v198
	v_sub_f16_e32 v198, v224, v198
	v_pack_b32_f16 v203, v243, v203
	v_pack_b32_f16 v198, v206, v198
	ds_write2_b32 v121, v200, v203 offset0:16 offset1:124
	v_sub_f16_e32 v200, v227, v249
	v_sub_f16_e32 v203, v231, v248
	v_pack_b32_f16 v200, v200, v203
	v_sub_f16_e32 v203, v207, v204
	v_pack_b32_f16 v201, v201, v203
	ds_write_b32 v130, v196 offset:7776
	ds_write2_b32 v122, v200, v201 offset0:72 offset1:180
	v_add_f16_e32 v201, v1, v192
	v_add_f16_e32 v196, v228, v202
	;; [unrolled: 1-line block ×5, first 2 shown]
	v_pack_b32_f16 v196, v196, v200
	v_fmac_f16_e32 v1, -0.5, v192
	v_sub_f16_e32 v192, v193, v195
	v_add_f16_e32 v200, v194, v94
	v_mul_f16_e32 v193, 0x3aee, v213
	v_mul_f16_e32 v195, 0xbaee, v211
	v_sub_f16_e32 v94, v194, v94
	v_pack_b32_f16 v199, v199, v200
	v_fmamk_f16 v200, v192, 0xbaee, v1
	v_fmac_f16_e32 v1, 0x3aee, v192
	v_fmac_f16_e32 v193, 0.5, v211
	v_fmac_f16_e32 v195, 0.5, v213
	v_pack_b32_f16 v2, v2, v94
	v_mov_b32_e32 v213, v97
	v_add_f16_e32 v192, v1, v136
	v_add_f16_e32 v201, v64, v193
	;; [unrolled: 1-line block ×3, first 2 shown]
	v_sub_f16_e32 v64, v64, v193
	v_sub_f16_e32 v162, v200, v195
	;; [unrolled: 1-line block ×3, first 2 shown]
	v_pack_b32_f16 v136, v214, v192
	v_pack_b32_f16 v201, v201, v202
	ds_write_b32 v130, v198 offset:12096
	ds_write_b32 v130, v199 offset:1728
	ds_write2_b32 v92, v196, v201 offset0:96 offset1:204
	v_pack_b32_f16 v64, v64, v162
	v_pack_b32_f16 v0, v0, v1
	ds_write_b32 v130, v136 offset:6048
	ds_write_b32 v130, v2 offset:8208
	;; [unrolled: 1-line block ×4, first 2 shown]
	s_waitcnt lgkmcnt(0)
	s_barrier
	buffer_gl0_inv
	global_load_dword v65, v[65:66], off offset:672
	ds_read2_b32 v[196:197], v130 offset1:108
	v_add_co_u32 v192, vcc_lo, 0x4000, v133
	v_add_co_ci_u32_e32 v193, vcc_lo, 0, v134, vcc_lo
	v_add_co_u32 v194, vcc_lo, 0x32a0, v133
	v_add_co_ci_u32_e32 v195, vcc_lo, 0, v134, vcc_lo
	s_clause 0x4
	global_load_dword v1, v[194:195], off offset:1728
	global_load_dword v2, v[192:193], off offset:32
	;; [unrolled: 1-line block ×5, first 2 shown]
	v_mov_b32_e32 v214, v91
	s_waitcnt lgkmcnt(0)
	v_lshrrev_b32_e32 v0, 16, v196
	s_waitcnt vmcnt(5)
	v_mul_f16_sdwa v66, v196, v65 dst_sel:DWORD dst_unused:UNUSED_PAD src0_sel:DWORD src1_sel:WORD_1
	v_fmac_f16_e32 v66, v0, v65
	v_mul_f16_sdwa v0, v0, v65 dst_sel:DWORD dst_unused:UNUSED_PAD src0_sel:DWORD src1_sel:WORD_1
	v_fma_f16 v0, v196, v65, -v0
	v_add_co_u32 v65, vcc_lo, 0x5000, v133
	v_pack_b32_f16 v0, v0, v66
	v_add_co_ci_u32_e32 v66, vcc_lo, 0, v134, vcc_lo
	ds_write_b32 v130, v0
	s_clause 0x1
	global_load_dword v0, v[192:193], off offset:1328
	global_load_dword v162, v[192:193], off offset:1760
	ds_read2_b32 v[198:199], v132 offset0:56 offset1:164
	s_clause 0x1
	global_load_dword v207, v[65:66], off offset:256
	global_load_dword v210, v[65:66], off offset:688
	s_waitcnt lgkmcnt(0)
	v_lshrrev_b32_e32 v196, 16, v199
	s_waitcnt vmcnt(3)
	v_mul_f16_sdwa v201, v199, v0 dst_sel:DWORD dst_unused:UNUSED_PAD src0_sel:DWORD src1_sel:WORD_1
	v_fmac_f16_e32 v201, v196, v0
	v_mul_f16_sdwa v196, v196, v0 dst_sel:DWORD dst_unused:UNUSED_PAD src0_sel:DWORD src1_sel:WORD_1
	v_fma_f16 v0, v199, v0, -v196
	ds_read2_b32 v[199:200], v121 offset0:16 offset1:124
	v_pack_b32_f16 v0, v0, v201
	v_add_co_u32 v201, vcc_lo, 0x4800, v133
	s_waitcnt lgkmcnt(0)
	v_lshrrev_b32_e32 v196, 16, v199
	s_waitcnt vmcnt(2)
	v_mul_f16_sdwa v202, v199, v162 dst_sel:DWORD dst_unused:UNUSED_PAD src0_sel:DWORD src1_sel:WORD_1
	v_fmac_f16_e32 v202, v196, v162
	v_mul_f16_sdwa v196, v196, v162 dst_sel:DWORD dst_unused:UNUSED_PAD src0_sel:DWORD src1_sel:WORD_1
	v_fma_f16 v162, v199, v162, -v196
	v_pack_b32_f16 v162, v162, v202
	v_add_co_ci_u32_e32 v202, vcc_lo, 0, v134, vcc_lo
	ds_write2_b32 v141, v0, v162 offset0:36 offset1:144
	s_clause 0x3
	global_load_dword v0, v[65:66], off offset:1552
	global_load_dword v141, v[65:66], off offset:1984
	;; [unrolled: 1-line block ×4, first 2 shown]
	ds_read2_b32 v[65:66], v131 offset0:112 offset1:220
	ds_read2_b32 v[203:204], v122 offset0:72 offset1:180
	s_waitcnt lgkmcnt(1)
	v_lshrrev_b32_e32 v199, 16, v66
	s_waitcnt vmcnt(3)
	v_mul_f16_sdwa v205, v66, v0 dst_sel:DWORD dst_unused:UNUSED_PAD src0_sel:DWORD src1_sel:WORD_1
	v_fmac_f16_e32 v205, v199, v0
	v_mul_f16_sdwa v199, v199, v0 dst_sel:DWORD dst_unused:UNUSED_PAD src0_sel:DWORD src1_sel:WORD_1
	v_fma_f16 v0, v66, v0, -v199
	s_waitcnt lgkmcnt(0)
	v_lshrrev_b32_e32 v66, 16, v203
	s_waitcnt vmcnt(2)
	v_mul_f16_sdwa v199, v203, v141 dst_sel:DWORD dst_unused:UNUSED_PAD src0_sel:DWORD src1_sel:WORD_1
	v_pack_b32_f16 v0, v0, v205
	v_add_co_u32 v205, vcc_lo, 0x5800, v133
	v_fmac_f16_e32 v199, v66, v141
	v_mul_f16_sdwa v66, v66, v141 dst_sel:DWORD dst_unused:UNUSED_PAD src0_sel:DWORD src1_sel:WORD_1
	v_add_co_ci_u32_e32 v206, vcc_lo, 0, v134, vcc_lo
	v_fma_f16 v66, v203, v141, -v66
	v_pack_b32_f16 v66, v66, v199
	ds_write2_b32 v140, v0, v66 offset0:92 offset1:200
	global_load_dword v0, v[194:195], off offset:1296
	ds_read2_b32 v[140:141], v124 offset0:88 offset1:196
	ds_read2_b32 v[194:195], v95 offset0:48 offset1:156
	s_waitcnt lgkmcnt(1)
	v_lshrrev_b32_e32 v66, 16, v141
	s_waitcnt vmcnt(0)
	v_mul_f16_sdwa v199, v141, v0 dst_sel:DWORD dst_unused:UNUSED_PAD src0_sel:DWORD src1_sel:WORD_1
	v_fmac_f16_e32 v199, v66, v0
	v_mul_f16_sdwa v66, v66, v0 dst_sel:DWORD dst_unused:UNUSED_PAD src0_sel:DWORD src1_sel:WORD_1
	v_fma_f16 v0, v141, v0, -v66
	s_waitcnt lgkmcnt(0)
	v_lshrrev_b32_e32 v66, 16, v194
	v_mul_f16_sdwa v141, v194, v1 dst_sel:DWORD dst_unused:UNUSED_PAD src0_sel:DWORD src1_sel:WORD_1
	v_pack_b32_f16 v0, v0, v199
	v_fmac_f16_e32 v141, v66, v1
	v_mul_f16_sdwa v66, v66, v1 dst_sel:DWORD dst_unused:UNUSED_PAD src0_sel:DWORD src1_sel:WORD_1
	v_fma_f16 v1, v194, v1, -v66
	v_add_nc_u32_e32 v66, 0x400, v130
	v_lshrrev_b32_e32 v194, 16, v204
	v_pack_b32_f16 v1, v1, v141
	ds_write2_b32 v66, v0, v1 offset0:68 offset1:176
	s_clause 0x4
	global_load_dword v0, v[205:206], off offset:368
	global_load_dword v1, v[205:206], off offset:800
	;; [unrolled: 1-line block ×5, first 2 shown]
	s_waitcnt vmcnt(4)
	v_mul_f16_sdwa v203, v194, v0 dst_sel:DWORD dst_unused:UNUSED_PAD src0_sel:DWORD src1_sel:WORD_1
	v_mul_f16_sdwa v206, v204, v0 dst_sel:DWORD dst_unused:UNUSED_PAD src0_sel:DWORD src1_sel:WORD_1
	v_fma_f16 v205, v204, v0, -v203
	ds_read2_b32 v[203:204], v116 offset0:32 offset1:140
	v_fmac_f16_e32 v206, v194, v0
	s_waitcnt lgkmcnt(0)
	v_lshrrev_b32_e32 v0, 16, v203
	s_waitcnt vmcnt(3)
	v_mul_f16_sdwa v194, v203, v1 dst_sel:DWORD dst_unused:UNUSED_PAD src0_sel:DWORD src1_sel:WORD_1
	v_fmac_f16_e32 v194, v0, v1
	v_mul_f16_sdwa v0, v0, v1 dst_sel:DWORD dst_unused:UNUSED_PAD src0_sel:DWORD src1_sel:WORD_1
	v_fma_f16 v0, v203, v1, -v0
	v_pack_b32_f16 v1, v205, v206
	v_pack_b32_f16 v0, v0, v194
	ds_write2_b32 v138, v1, v0 offset0:52 offset1:160
	s_clause 0x2
	global_load_dword v0, v[201:202], off offset:1008
	global_load_dword v1, v[201:202], off offset:1440
	global_load_dword v194, v[201:202], off offset:576
	ds_read2_b32 v[201:202], v111 offset0:104 offset1:212
	s_waitcnt lgkmcnt(0)
	v_lshrrev_b32_e32 v138, 16, v202
	s_waitcnt vmcnt(2)
	v_mul_f16_sdwa v205, v202, v0 dst_sel:DWORD dst_unused:UNUSED_PAD src0_sel:DWORD src1_sel:WORD_1
	v_fmac_f16_e32 v205, v138, v0
	v_mul_f16_sdwa v138, v138, v0 dst_sel:DWORD dst_unused:UNUSED_PAD src0_sel:DWORD src1_sel:WORD_1
	v_fma_f16 v0, v202, v0, -v138
	ds_read2_b32 v[202:203], v91 offset0:64 offset1:172
	v_mov_b32_e32 v91, v103
	v_pack_b32_f16 v0, v0, v205
	s_waitcnt lgkmcnt(0)
	v_lshrrev_b32_e32 v138, 16, v202
	s_waitcnt vmcnt(1)
	v_mul_f16_sdwa v206, v202, v1 dst_sel:DWORD dst_unused:UNUSED_PAD src0_sel:DWORD src1_sel:WORD_1
	v_fmac_f16_e32 v206, v138, v1
	v_mul_f16_sdwa v138, v138, v1 dst_sel:DWORD dst_unused:UNUSED_PAD src0_sel:DWORD src1_sel:WORD_1
	v_fma_f16 v1, v202, v1, -v138
	v_add_co_u32 v138, vcc_lo, 0x6000, v133
	v_pack_b32_f16 v1, v1, v206
	ds_write2_b32 v139, v0, v1 offset0:84 offset1:192
	v_add_co_ci_u32_e32 v139, vcc_lo, 0, v134, vcc_lo
	v_add_co_u32 v133, vcc_lo, 0x3800, v133
	v_add_co_ci_u32_e32 v134, vcc_lo, 0, v134, vcc_lo
	s_clause 0x3
	global_load_dword v0, v[138:139], off offset:48
	global_load_dword v1, v[138:139], off offset:480
	;; [unrolled: 1-line block ×4, first 2 shown]
	ds_read2_b32 v[138:139], v105 offset0:136 offset1:244
	global_load_dword v212, v[133:134], off offset:1216
	s_waitcnt lgkmcnt(0)
	v_lshrrev_b32_e32 v205, 16, v139
	s_waitcnt vmcnt(1)
	v_mul_f16_sdwa v208, v139, v202 dst_sel:DWORD dst_unused:UNUSED_PAD src0_sel:DWORD src1_sel:WORD_1
	v_fmac_f16_e32 v208, v205, v202
	v_mul_f16_sdwa v205, v205, v202 dst_sel:DWORD dst_unused:UNUSED_PAD src0_sel:DWORD src1_sel:WORD_1
	v_fma_f16 v139, v139, v202, -v205
	ds_read2_b32 v[205:206], v92 offset0:96 offset1:204
	v_pack_b32_f16 v139, v139, v208
	s_waitcnt lgkmcnt(0)
	v_lshrrev_b32_e32 v202, 16, v205
	v_mul_f16_sdwa v209, v205, v2 dst_sel:DWORD dst_unused:UNUSED_PAD src0_sel:DWORD src1_sel:WORD_1
	v_fmac_f16_e32 v209, v202, v2
	v_mul_f16_sdwa v202, v202, v2 dst_sel:DWORD dst_unused:UNUSED_PAD src0_sel:DWORD src1_sel:WORD_1
	v_fma_f16 v2, v205, v2, -v202
	v_add_nc_u32_e32 v202, 0xa00, v130
	v_mul_f16_sdwa v205, v203, v199 dst_sel:DWORD dst_unused:UNUSED_PAD src0_sel:DWORD src1_sel:WORD_1
	v_pack_b32_f16 v2, v2, v209
	ds_write2_b32 v202, v139, v2 offset0:116 offset1:224
	v_lshrrev_b32_e32 v2, 16, v203
	v_mul_f16_sdwa v139, v2, v199 dst_sel:DWORD dst_unused:UNUSED_PAD src0_sel:DWORD src1_sel:WORD_1
	v_fmac_f16_e32 v205, v2, v199
	v_fma_f16 v139, v203, v199, -v139
	ds_read2_b32 v[202:203], v97 offset0:24 offset1:132
	v_pack_b32_f16 v139, v139, v205
	s_waitcnt lgkmcnt(0)
	v_lshrrev_b32_e32 v2, 16, v202
	v_mul_f16_sdwa v199, v202, v207 dst_sel:DWORD dst_unused:UNUSED_PAD src0_sel:DWORD src1_sel:WORD_1
	v_fmac_f16_e32 v199, v2, v207
	v_mul_f16_sdwa v2, v2, v207 dst_sel:DWORD dst_unused:UNUSED_PAD src0_sel:DWORD src1_sel:WORD_1
	v_fma_f16 v2, v202, v207, -v2
	ds_read2_b32 v[207:208], v93 offset0:120 offset1:228
	v_pack_b32_f16 v2, v2, v199
	ds_write2_b32 v137, v139, v2 offset0:44 offset1:152
	s_waitcnt lgkmcnt(1)
	v_lshrrev_b32_e32 v2, 16, v208
	v_mul_f16_sdwa v137, v208, v0 dst_sel:DWORD dst_unused:UNUSED_PAD src0_sel:DWORD src1_sel:WORD_1
	v_fmac_f16_e32 v137, v2, v0
	v_mul_f16_sdwa v2, v2, v0 dst_sel:DWORD dst_unused:UNUSED_PAD src0_sel:DWORD src1_sel:WORD_1
	v_fma_f16 v0, v208, v0, -v2
	ds_read2_b32 v[208:209], v103 offset0:80 offset1:188
	v_mov_b32_e32 v103, v95
	v_pack_b32_f16 v0, v0, v137
	s_waitcnt lgkmcnt(0)
	v_lshrrev_b32_e32 v2, 16, v208
	v_mul_f16_sdwa v139, v208, v1 dst_sel:DWORD dst_unused:UNUSED_PAD src0_sel:DWORD src1_sel:WORD_1
	v_fmac_f16_e32 v139, v2, v1
	v_mul_f16_sdwa v2, v2, v1 dst_sel:DWORD dst_unused:UNUSED_PAD src0_sel:DWORD src1_sel:WORD_1
	v_fma_f16 v1, v208, v1, -v2
	v_add_nc_u32_e32 v2, 0x2c00, v130
	v_pack_b32_f16 v1, v1, v139
	v_mul_f16_sdwa v139, v206, v64 dst_sel:DWORD dst_unused:UNUSED_PAD src0_sel:DWORD src1_sel:WORD_1
	ds_write2_b32 v2, v0, v1 offset0:100 offset1:208
	global_load_dword v0, v[192:193], off offset:896
	v_lshrrev_b32_e32 v1, 16, v198
	s_waitcnt vmcnt(0)
	v_mul_f16_sdwa v2, v1, v0 dst_sel:DWORD dst_unused:UNUSED_PAD src0_sel:DWORD src1_sel:WORD_1
	v_mul_f16_sdwa v137, v198, v0 dst_sel:DWORD dst_unused:UNUSED_PAD src0_sel:DWORD src1_sel:WORD_1
	v_fma_f16 v2, v198, v0, -v2
	v_fmac_f16_e32 v137, v1, v0
	v_lshrrev_b32_e32 v0, 16, v206
	v_mul_f16_sdwa v1, v0, v64 dst_sel:DWORD dst_unused:UNUSED_PAD src0_sel:DWORD src1_sel:WORD_1
	v_fmac_f16_e32 v139, v0, v64
	v_pack_b32_f16 v0, v2, v137
	v_add_nc_u32_e32 v2, 0xe00, v130
	v_mul_f16_sdwa v137, v140, v136 dst_sel:DWORD dst_unused:UNUSED_PAD src0_sel:DWORD src1_sel:WORD_1
	v_fma_f16 v1, v206, v64, -v1
	v_pack_b32_f16 v1, v1, v139
	v_mul_f16_sdwa v139, v200, v162 dst_sel:DWORD dst_unused:UNUSED_PAD src0_sel:DWORD src1_sel:WORD_1
	ds_write2_b32 v2, v1, v0 offset0:76 offset1:184
	v_lshrrev_b32_e32 v0, 16, v65
	v_mul_f16_sdwa v2, v65, v196 dst_sel:DWORD dst_unused:UNUSED_PAD src0_sel:DWORD src1_sel:WORD_1
	v_mul_f16_sdwa v1, v0, v196 dst_sel:DWORD dst_unused:UNUSED_PAD src0_sel:DWORD src1_sel:WORD_1
	v_fmac_f16_e32 v2, v0, v196
	v_lshrrev_b32_e32 v0, 16, v197
	v_fma_f16 v1, v65, v196, -v1
	v_mul_f16_sdwa v65, v197, v94 dst_sel:DWORD dst_unused:UNUSED_PAD src0_sel:DWORD src1_sel:WORD_1
	v_mul_f16_sdwa v64, v0, v94 dst_sel:DWORD dst_unused:UNUSED_PAD src0_sel:DWORD src1_sel:WORD_1
	v_fmac_f16_e32 v65, v0, v94
	v_lshrrev_b32_e32 v0, 16, v140
	v_fma_f16 v64, v197, v94, -v64
	v_mul_f16_sdwa v94, v0, v136 dst_sel:DWORD dst_unused:UNUSED_PAD src0_sel:DWORD src1_sel:WORD_1
	v_fmac_f16_e32 v137, v0, v136
	v_lshrrev_b32_e32 v0, 16, v200
	v_fma_f16 v94, v140, v136, -v94
	;; [unrolled: 4-line block ×3, first 2 shown]
	v_mul_f16_sdwa v162, v201, v194 dst_sel:DWORD dst_unused:UNUSED_PAD src0_sel:DWORD src1_sel:WORD_1
	v_mul_f16_sdwa v140, v0, v194 dst_sel:DWORD dst_unused:UNUSED_PAD src0_sel:DWORD src1_sel:WORD_1
	v_fmac_f16_e32 v162, v0, v194
	v_fma_f16 v140, v201, v194, -v140
	v_pack_b32_f16 v0, v64, v65
	v_pack_b32_f16 v64, v94, v137
	v_mul_f16_sdwa v137, v207, v141 dst_sel:DWORD dst_unused:UNUSED_PAD src0_sel:DWORD src1_sel:WORD_1
	ds_write2_b32 v130, v0, v64 offset0:108 offset1:216
	v_pack_b32_f16 v0, v136, v139
	v_pack_b32_f16 v64, v140, v162
	ds_write2_b32 v121, v0, v64 offset0:124 offset1:232
	global_load_dword v0, v[133:134], off offset:784
	v_lshrrev_b32_e32 v64, 16, v195
	v_mul_f16_sdwa v133, v204, v66 dst_sel:DWORD dst_unused:UNUSED_PAD src0_sel:DWORD src1_sel:WORD_1
	v_mul_f16_sdwa v134, v138, v212 dst_sel:DWORD dst_unused:UNUSED_PAD src0_sel:DWORD src1_sel:WORD_1
	s_waitcnt vmcnt(0)
	v_mul_f16_sdwa v65, v64, v0 dst_sel:DWORD dst_unused:UNUSED_PAD src0_sel:DWORD src1_sel:WORD_1
	v_mul_f16_sdwa v94, v195, v0 dst_sel:DWORD dst_unused:UNUSED_PAD src0_sel:DWORD src1_sel:WORD_1
	v_fma_f16 v65, v195, v0, -v65
	v_fmac_f16_e32 v94, v64, v0
	v_lshrrev_b32_e32 v0, 16, v204
	v_mul_f16_sdwa v64, v0, v66 dst_sel:DWORD dst_unused:UNUSED_PAD src0_sel:DWORD src1_sel:WORD_1
	v_fmac_f16_e32 v133, v0, v66
	v_lshrrev_b32_e32 v0, 16, v138
	v_fma_f16 v64, v204, v66, -v64
	v_mul_f16_sdwa v66, v0, v212 dst_sel:DWORD dst_unused:UNUSED_PAD src0_sel:DWORD src1_sel:WORD_1
	v_fmac_f16_e32 v134, v0, v212
	v_lshrrev_b32_e32 v0, 16, v207
	v_fma_f16 v66, v138, v212, -v66
	v_mul_f16_sdwa v136, v0, v141 dst_sel:DWORD dst_unused:UNUSED_PAD src0_sel:DWORD src1_sel:WORD_1
	v_fmac_f16_e32 v137, v0, v141
	v_pack_b32_f16 v0, v65, v94
	v_pack_b32_f16 v65, v66, v134
	v_mul_f16_sdwa v94, v209, v211 dst_sel:DWORD dst_unused:UNUSED_PAD src0_sel:DWORD src1_sel:WORD_1
	v_fma_f16 v136, v207, v141, -v136
	ds_write2_b32 v105, v0, v65 offset0:28 offset1:136
	v_pack_b32_f16 v0, v64, v133
	v_pack_b32_f16 v64, v136, v137
	v_mul_f16_sdwa v65, v203, v210 dst_sel:DWORD dst_unused:UNUSED_PAD src0_sel:DWORD src1_sel:WORD_1
	ds_write2_b32 v116, v0, v64 offset0:140 offset1:248
	v_lshrrev_b32_e32 v0, 16, v203
	v_mul_f16_sdwa v64, v0, v210 dst_sel:DWORD dst_unused:UNUSED_PAD src0_sel:DWORD src1_sel:WORD_1
	v_fmac_f16_e32 v65, v0, v210
	v_lshrrev_b32_e32 v0, 16, v209
	v_fma_f16 v64, v203, v210, -v64
	v_mul_f16_sdwa v66, v0, v211 dst_sel:DWORD dst_unused:UNUSED_PAD src0_sel:DWORD src1_sel:WORD_1
	v_fmac_f16_e32 v94, v0, v211
	v_pack_b32_f16 v0, v1, v2
	v_pack_b32_f16 v1, v64, v65
	v_fma_f16 v66, v209, v211, -v66
	ds_write2_b32 v131, v1, v0 offset0:4 offset1:112
	v_pack_b32_f16 v0, v66, v94
	ds_write_b32 v130, v0 offset:12528
	s_waitcnt lgkmcnt(0)
	s_barrier
	buffer_gl0_inv
	ds_read2_b32 v[65:66], v124 offset0:88 offset1:196
	ds_read2_b32 v[133:134], v121 offset0:16 offset1:124
	;; [unrolled: 1-line block ×3, first 2 shown]
	s_waitcnt lgkmcnt(1)
	v_pk_add_f16 v0, v65, v133
	s_waitcnt lgkmcnt(0)
	v_pk_add_f16 v1, v133, v136
	v_pk_add_f16 v2, v66, v134
	;; [unrolled: 1-line block ×3, first 2 shown]
	v_pk_add_f16 v64, v133, v136 neg_lo:[0,1] neg_hi:[0,1]
	v_pk_add_f16 v140, v134, v137 neg_lo:[0,1] neg_hi:[0,1]
	v_pk_add_f16 v0, v0, v136
	v_pk_add_f16 v2, v2, v137
	v_pk_fma_f16 v1, v1, 0.5, v65 op_sel_hi:[1,0,1] neg_lo:[1,0,0] neg_hi:[1,0,0]
	v_pk_fma_f16 v94, v94, 0.5, v66 op_sel_hi:[1,0,1] neg_lo:[1,0,0] neg_hi:[1,0,0]
	ds_read2_b32 v[65:66], v95 offset0:48 offset1:156
	ds_read2_b32 v[133:134], v111 offset0:104 offset1:212
	;; [unrolled: 1-line block ×3, first 2 shown]
	v_pk_mul_f16 v64, 0x3aee, v64 op_sel_hi:[0,1]
	s_waitcnt lgkmcnt(1)
	v_pk_add_f16 v138, v65, v133
	s_waitcnt lgkmcnt(0)
	v_pk_add_f16 v139, v133, v136
	v_pk_add_f16 v141, v66, v134
	v_pk_add_f16 v162, v133, v136 neg_lo:[0,1] neg_hi:[0,1]
	v_pk_add_f16 v133, v134, v137
	v_pk_add_f16 v192, v134, v137 neg_lo:[0,1] neg_hi:[0,1]
	v_pk_add_f16 v193, v138, v136
	v_pk_add_f16 v141, v141, v137
	v_pk_fma_f16 v194, v139, 0.5, v65 op_sel_hi:[1,0,1] neg_lo:[1,0,0] neg_hi:[1,0,0]
	v_pk_fma_f16 v195, v133, 0.5, v66 op_sel_hi:[1,0,1] neg_lo:[1,0,0] neg_hi:[1,0,0]
	ds_read2_b32 v[65:66], v105 offset0:136 offset1:244
	ds_read2_b32 v[133:134], v214 offset0:64 offset1:172
	;; [unrolled: 1-line block ×3, first 2 shown]
	s_waitcnt lgkmcnt(1)
	v_pk_add_f16 v138, v65, v133
	s_waitcnt lgkmcnt(0)
	v_pk_add_f16 v139, v133, v136
	v_pk_add_f16 v197, v133, v136 neg_lo:[0,1] neg_hi:[0,1]
	v_pk_add_f16 v133, v134, v137
	v_pk_add_f16 v196, v66, v134
	v_pk_add_f16 v198, v134, v137 neg_lo:[0,1] neg_hi:[0,1]
	v_pk_fma_f16 v200, v139, 0.5, v65 op_sel_hi:[1,0,1] neg_lo:[1,0,0] neg_hi:[1,0,0]
	v_pk_add_f16 v199, v138, v136
	v_pk_fma_f16 v201, v133, 0.5, v66 op_sel_hi:[1,0,1] neg_lo:[1,0,0] neg_hi:[1,0,0]
	ds_read2_b32 v[65:66], v92 offset0:96 offset1:204
	ds_read2_b32 v[133:134], v97 offset0:24 offset1:132
	v_pk_add_f16 v196, v196, v137
	ds_read2_b32 v[136:137], v91 offset0:80 offset1:188
	s_waitcnt lgkmcnt(1)
	v_pk_add_f16 v138, v65, v133
	v_pk_add_f16 v139, v66, v134
	s_waitcnt lgkmcnt(0)
	v_pk_add_f16 v202, v133, v136
	v_pk_add_f16 v203, v133, v136 neg_lo:[0,1] neg_hi:[0,1]
	v_pk_add_f16 v204, v134, v137
	v_pk_add_f16 v205, v134, v137 neg_lo:[0,1] neg_hi:[0,1]
	v_pk_add_f16 v206, v138, v136
	v_pk_add_f16 v207, v139, v137
	ds_read2_b32 v[133:134], v130 offset1:108
	ds_read2_b32 v[136:137], v132 offset0:56 offset1:164
	ds_read2_b32 v[138:139], v131 offset0:112 offset1:220
	s_waitcnt lgkmcnt(0)
	s_barrier
	buffer_gl0_inv
	v_pk_add_f16 v208, v134, v137
	v_pk_add_f16 v209, v137, v139
	;; [unrolled: 1-line block ×4, first 2 shown]
	v_pk_add_f16 v136, v136, v138 neg_lo:[0,1] neg_hi:[0,1]
	v_pk_add_f16 v137, v137, v139 neg_lo:[0,1] neg_hi:[0,1]
	v_pk_fma_f16 v134, v209, 0.5, v134 op_sel_hi:[1,0,1] neg_lo:[1,0,0] neg_hi:[1,0,0]
	buffer_load_dword v209, off, s[20:23], 0 offset:24 ; 4-byte Folded Reload
	v_pk_fma_f16 v133, v211, 0.5, v133 op_sel_hi:[1,0,1] neg_lo:[1,0,0] neg_hi:[1,0,0]
	v_pk_mul_f16 v136, 0x3aee, v136 op_sel_hi:[0,1]
	v_pk_add_f16 v139, v208, v139
	v_pk_add_f16 v138, v210, v138
	v_pk_add_f16 v208, v133, v136 op_sel:[0,1] op_sel_hi:[1,0] neg_lo:[0,1] neg_hi:[0,1]
	v_pk_add_f16 v133, v133, v136 op_sel:[0,1] op_sel_hi:[1,0]
	v_bfi_b32 v136, 0xffff, v208, v133
	v_bfi_b32 v133, 0xffff, v133, v208
	s_waitcnt vmcnt(0)
	ds_write_b32 v209, v133 offset:8
	v_pk_mul_f16 v133, 0x3aee, v137 op_sel_hi:[0,1]
	ds_write2_b32 v209, v138, v136 offset1:1
	v_pk_add_f16 v136, v134, v133 op_sel:[0,1] op_sel_hi:[1,0] neg_lo:[0,1] neg_hi:[0,1]
	v_pk_add_f16 v133, v134, v133 op_sel:[0,1] op_sel_hi:[1,0]
	v_bfi_b32 v134, 0xffff, v136, v133
	v_bfi_b32 v133, 0xffff, v133, v136
	ds_write2_b32 v144, v139, v134 offset1:1
	ds_write_b32 v144, v133 offset:8
	v_pk_add_f16 v133, v1, v64 op_sel:[0,1] op_sel_hi:[1,0] neg_lo:[0,1] neg_hi:[0,1]
	v_pk_add_f16 v1, v1, v64 op_sel:[0,1] op_sel_hi:[1,0]
	v_bfi_b32 v64, 0xffff, v133, v1
	ds_write2_b32 v145, v0, v64 offset1:1
	v_bfi_b32 v0, 0xffff, v1, v133
	ds_write_b32 v145, v0 offset:8
	v_pk_mul_f16 v0, 0x3aee, v140 op_sel_hi:[0,1]
	v_pk_add_f16 v1, v94, v0 op_sel:[0,1] op_sel_hi:[1,0] neg_lo:[0,1] neg_hi:[0,1]
	v_pk_add_f16 v0, v94, v0 op_sel:[0,1] op_sel_hi:[1,0]
	v_bfi_b32 v64, 0xffff, v1, v0
	v_bfi_b32 v0, 0xffff, v0, v1
	ds_write2_b32 v146, v2, v64 offset1:1
	ds_write_b32 v146, v0 offset:8
	v_pk_mul_f16 v0, 0x3aee, v162 op_sel_hi:[0,1]
	v_pk_add_f16 v1, v194, v0 op_sel:[0,1] op_sel_hi:[1,0] neg_lo:[0,1] neg_hi:[0,1]
	v_pk_add_f16 v0, v194, v0 op_sel:[0,1] op_sel_hi:[1,0]
	v_bfi_b32 v2, 0xffff, v1, v0
	v_bfi_b32 v0, 0xffff, v0, v1
	ds_write2_b32 v147, v193, v2 offset1:1
	;; [unrolled: 7-line block ×4, first 2 shown]
	ds_write_b32 v149, v0 offset:8
	v_pk_mul_f16 v0, 0x3aee, v198 op_sel_hi:[0,1]
	v_pk_add_f16 v1, v201, v0 op_sel:[0,1] op_sel_hi:[1,0] neg_lo:[0,1] neg_hi:[0,1]
	v_pk_add_f16 v0, v201, v0 op_sel:[0,1] op_sel_hi:[1,0]
	v_bfi_b32 v2, 0xffff, v1, v0
	v_bfi_b32 v0, 0xffff, v0, v1
	v_pk_mul_f16 v1, 0x3aee, v203 op_sel_hi:[0,1]
	ds_write2_b32 v150, v196, v2 offset1:1
	ds_write_b32 v150, v0 offset:8
	v_pk_fma_f16 v0, v202, 0.5, v65 op_sel_hi:[1,0,1] neg_lo:[1,0,0] neg_hi:[1,0,0]
	v_pk_add_f16 v2, v0, v1 op_sel:[0,1] op_sel_hi:[1,0] neg_lo:[0,1] neg_hi:[0,1]
	v_pk_add_f16 v0, v0, v1 op_sel:[0,1] op_sel_hi:[1,0]
	v_bfi_b32 v1, 0xffff, v2, v0
	v_bfi_b32 v0, 0xffff, v0, v2
	ds_write2_b32 v151, v206, v1 offset1:1
	ds_write_b32 v151, v0 offset:8
	v_pk_fma_f16 v0, v204, 0.5, v66 op_sel_hi:[1,0,1] neg_lo:[1,0,0] neg_hi:[1,0,0]
	v_pk_mul_f16 v1, 0x3aee, v205 op_sel_hi:[0,1]
	v_pk_add_f16 v2, v0, v1 op_sel:[0,1] op_sel_hi:[1,0] neg_lo:[0,1] neg_hi:[0,1]
	v_pk_add_f16 v0, v0, v1 op_sel:[0,1] op_sel_hi:[1,0]
	v_bfi_b32 v1, 0xffff, v2, v0
	v_bfi_b32 v0, 0xffff, v0, v2
	ds_write2_b32 v152, v207, v1 offset1:1
	ds_write_b32 v152, v0 offset:8
	s_waitcnt lgkmcnt(0)
	s_barrier
	buffer_gl0_inv
	ds_read2_b32 v[65:66], v132 offset0:56 offset1:164
	ds_read2_b32 v[133:134], v131 offset0:112 offset1:220
	s_waitcnt lgkmcnt(1)
	v_lshrrev_b32_e32 v0, 16, v65
	v_mul_f16_sdwa v1, v79, v65 dst_sel:DWORD dst_unused:UNUSED_PAD src0_sel:WORD_1 src1_sel:DWORD
	s_waitcnt lgkmcnt(0)
	v_lshrrev_b32_e32 v2, 16, v133
	v_mul_f16_sdwa v64, v80, v133 dst_sel:DWORD dst_unused:UNUSED_PAD src0_sel:WORD_1 src1_sel:DWORD
	v_fma_f16 v1, v79, v0, -v1
	v_mul_f16_sdwa v0, v79, v0 dst_sel:DWORD dst_unused:UNUSED_PAD src0_sel:WORD_1 src1_sel:DWORD
	v_fma_f16 v64, v80, v2, -v64
	v_mul_f16_sdwa v2, v80, v2 dst_sel:DWORD dst_unused:UNUSED_PAD src0_sel:WORD_1 src1_sel:DWORD
	v_fmac_f16_e32 v0, v79, v65
	v_lshrrev_b32_e32 v65, 16, v66
	v_fmac_f16_e32 v2, v80, v133
	v_lshrrev_b32_e32 v80, 16, v134
	v_mul_f16_sdwa v133, v76, v134 dst_sel:DWORD dst_unused:UNUSED_PAD src0_sel:WORD_1 src1_sel:DWORD
	v_mul_f16_sdwa v79, v75, v65 dst_sel:DWORD dst_unused:UNUSED_PAD src0_sel:WORD_1 src1_sel:DWORD
	;; [unrolled: 1-line block ×3, first 2 shown]
	v_fma_f16 v80, v76, v80, -v133
	v_fmac_f16_e32 v79, v75, v66
	v_mul_f16_sdwa v66, v75, v66 dst_sel:DWORD dst_unused:UNUSED_PAD src0_sel:WORD_1 src1_sel:DWORD
	v_fmac_f16_e32 v94, v76, v134
	v_fma_f16 v134, v75, v65, -v66
	ds_read2_b32 v[65:66], v121 offset0:16 offset1:124
	s_waitcnt lgkmcnt(0)
	v_lshrrev_b32_e32 v75, 16, v65
	v_mul_f16_sdwa v76, v73, v65 dst_sel:DWORD dst_unused:UNUSED_PAD src0_sel:WORD_1 src1_sel:DWORD
	v_mul_f16_sdwa v136, v73, v75 dst_sel:DWORD dst_unused:UNUSED_PAD src0_sel:WORD_1 src1_sel:DWORD
	v_fma_f16 v133, v73, v75, -v76
	ds_read2_b32 v[75:76], v122 offset0:72 offset1:180
	v_fmac_f16_e32 v136, v73, v65
	v_lshrrev_b32_e32 v65, 16, v66
	s_waitcnt lgkmcnt(0)
	v_lshrrev_b32_e32 v137, 16, v75
	v_mul_f16_sdwa v138, v74, v75 dst_sel:DWORD dst_unused:UNUSED_PAD src0_sel:WORD_1 src1_sel:DWORD
	v_lshrrev_b32_e32 v73, 16, v76
	v_fma_f16 v138, v74, v137, -v138
	v_mul_f16_sdwa v137, v74, v137 dst_sel:DWORD dst_unused:UNUSED_PAD src0_sel:WORD_1 src1_sel:DWORD
	v_mul_f16_sdwa v139, v70, v73 dst_sel:DWORD dst_unused:UNUSED_PAD src0_sel:WORD_1 src1_sel:DWORD
	v_fmac_f16_e32 v137, v74, v75
	v_mul_f16_sdwa v75, v69, v65 dst_sel:DWORD dst_unused:UNUSED_PAD src0_sel:WORD_1 src1_sel:DWORD
	v_fmac_f16_e32 v139, v70, v76
	;; [unrolled: 2-line block ×3, first 2 shown]
	v_mul_f16_sdwa v66, v69, v66 dst_sel:DWORD dst_unused:UNUSED_PAD src0_sel:WORD_1 src1_sel:DWORD
	v_fma_f16 v140, v70, v73, -v74
	v_fma_f16 v76, v69, v65, -v66
	ds_read2_b32 v[65:66], v111 offset0:104 offset1:212
	s_waitcnt lgkmcnt(0)
	v_lshrrev_b32_e32 v69, 16, v65
	v_mul_f16_sdwa v70, v85, v65 dst_sel:DWORD dst_unused:UNUSED_PAD src0_sel:WORD_1 src1_sel:DWORD
	v_mul_f16_sdwa v144, v85, v69 dst_sel:DWORD dst_unused:UNUSED_PAD src0_sel:WORD_1 src1_sel:DWORD
	v_fma_f16 v141, v85, v69, -v70
	ds_read2_b32 v[69:70], v116 offset0:32 offset1:140
	v_fmac_f16_e32 v144, v85, v65
	v_lshrrev_b32_e32 v65, 16, v66
	v_mul_f16_sdwa v85, v83, v65 dst_sel:DWORD dst_unused:UNUSED_PAD src0_sel:WORD_1 src1_sel:DWORD
	v_fmac_f16_e32 v85, v83, v66
	v_mul_f16_sdwa v66, v83, v66 dst_sel:DWORD dst_unused:UNUSED_PAD src0_sel:WORD_1 src1_sel:DWORD
	s_waitcnt lgkmcnt(0)
	v_lshrrev_b32_e32 v73, 16, v69
	v_fma_f16 v83, v83, v65, -v66
	ds_read2_b32 v[65:66], v214 offset0:64 offset1:172
	v_mul_f16_sdwa v74, v86, v69 dst_sel:DWORD dst_unused:UNUSED_PAD src0_sel:WORD_1 src1_sel:DWORD
	v_mul_f16_sdwa v146, v86, v73 dst_sel:DWORD dst_unused:UNUSED_PAD src0_sel:WORD_1 src1_sel:DWORD
	v_fma_f16 v145, v86, v73, -v74
	v_fmac_f16_e32 v146, v86, v69
	v_lshrrev_b32_e32 v69, 16, v70
	v_mul_f16_sdwa v86, v84, v69 dst_sel:DWORD dst_unused:UNUSED_PAD src0_sel:WORD_1 src1_sel:DWORD
	v_fmac_f16_e32 v86, v84, v70
	v_mul_f16_sdwa v70, v84, v70 dst_sel:DWORD dst_unused:UNUSED_PAD src0_sel:WORD_1 src1_sel:DWORD
	v_fma_f16 v84, v84, v69, -v70
	s_waitcnt lgkmcnt(0)
	v_lshrrev_b32_e32 v69, 16, v65
	v_mul_f16_sdwa v70, v81, v65 dst_sel:DWORD dst_unused:UNUSED_PAD src0_sel:WORD_1 src1_sel:DWORD
	v_mul_f16_sdwa v148, v81, v69 dst_sel:DWORD dst_unused:UNUSED_PAD src0_sel:WORD_1 src1_sel:DWORD
	v_fma_f16 v147, v81, v69, -v70
	ds_read2_b32 v[69:70], v93 offset0:120 offset1:228
	v_fmac_f16_e32 v148, v81, v65
	v_lshrrev_b32_e32 v65, 16, v66
	v_mul_f16_sdwa v81, v77, v65 dst_sel:DWORD dst_unused:UNUSED_PAD src0_sel:WORD_1 src1_sel:DWORD
	v_fmac_f16_e32 v81, v77, v66
	v_mul_f16_sdwa v66, v77, v66 dst_sel:DWORD dst_unused:UNUSED_PAD src0_sel:WORD_1 src1_sel:DWORD
	s_waitcnt lgkmcnt(0)
	v_lshrrev_b32_e32 v73, 16, v69
	v_fma_f16 v77, v77, v65, -v66
	ds_read2_b32 v[65:66], v213 offset0:24 offset1:132
	v_mul_f16_sdwa v74, v82, v69 dst_sel:DWORD dst_unused:UNUSED_PAD src0_sel:WORD_1 src1_sel:DWORD
	v_mul_f16_sdwa v150, v82, v73 dst_sel:DWORD dst_unused:UNUSED_PAD src0_sel:WORD_1 src1_sel:DWORD
	v_fma_f16 v149, v82, v73, -v74
	v_fmac_f16_e32 v150, v82, v69
	v_lshrrev_b32_e32 v69, 16, v70
	v_mul_f16_sdwa v82, v78, v69 dst_sel:DWORD dst_unused:UNUSED_PAD src0_sel:WORD_1 src1_sel:DWORD
	v_fmac_f16_e32 v82, v78, v70
	v_mul_f16_sdwa v70, v78, v70 dst_sel:DWORD dst_unused:UNUSED_PAD src0_sel:WORD_1 src1_sel:DWORD
	v_fma_f16 v78, v78, v69, -v70
	s_waitcnt lgkmcnt(0)
	v_lshrrev_b32_e32 v69, 16, v65
	v_mul_f16_sdwa v70, v71, v65 dst_sel:DWORD dst_unused:UNUSED_PAD src0_sel:WORD_1 src1_sel:DWORD
	v_mul_f16_sdwa v152, v71, v69 dst_sel:DWORD dst_unused:UNUSED_PAD src0_sel:WORD_1 src1_sel:DWORD
	v_fma_f16 v151, v71, v69, -v70
	ds_read2_b32 v[69:70], v91 offset0:80 offset1:188
	v_fmac_f16_e32 v152, v71, v65
	v_lshrrev_b32_e32 v65, 16, v66
	v_mul_f16_sdwa v193, v67, v65 dst_sel:DWORD dst_unused:UNUSED_PAD src0_sel:WORD_1 src1_sel:DWORD
	v_fmac_f16_e32 v193, v67, v66
	v_mul_f16_sdwa v66, v67, v66 dst_sel:DWORD dst_unused:UNUSED_PAD src0_sel:WORD_1 src1_sel:DWORD
	v_fma_f16 v195, v67, v65, -v66
	ds_read2_b32 v[65:66], v130 offset1:108
	s_waitcnt lgkmcnt(1)
	v_lshrrev_b32_e32 v73, 16, v69
	v_mul_f16_sdwa v74, v72, v69 dst_sel:DWORD dst_unused:UNUSED_PAD src0_sel:WORD_1 src1_sel:DWORD
	v_mul_f16_sdwa v192, v72, v73 dst_sel:DWORD dst_unused:UNUSED_PAD src0_sel:WORD_1 src1_sel:DWORD
	v_fma_f16 v162, v72, v73, -v74
	v_fmac_f16_e32 v192, v72, v69
	v_lshrrev_b32_e32 v69, 16, v70
	v_mul_f16_sdwa v194, v68, v69 dst_sel:DWORD dst_unused:UNUSED_PAD src0_sel:WORD_1 src1_sel:DWORD
	s_waitcnt lgkmcnt(0)
	v_lshrrev_b32_e32 v197, 16, v65
	v_fmac_f16_e32 v194, v68, v70
	v_mul_f16_sdwa v70, v68, v70 dst_sel:DWORD dst_unused:UNUSED_PAD src0_sel:WORD_1 src1_sel:DWORD
	v_add_f16_e32 v67, v197, v1
	v_fma_f16 v196, v68, v69, -v70
	v_add_f16_e32 v68, v1, v64
	v_sub_f16_e32 v1, v1, v64
	v_add_f16_e32 v64, v67, v64
	v_add_f16_e32 v67, v65, v0
	v_fmac_f16_e32 v197, -0.5, v68
	v_add_f16_e32 v68, v0, v2
	v_sub_f16_e32 v0, v0, v2
	v_add_f16_e32 v67, v67, v2
	v_pack_b32_f16 v2, v67, v64
	v_fma_f16 v64, -0.5, v68, v65
	v_fmamk_f16 v67, v0, 0x3aee, v197
	v_fmac_f16_e32 v197, 0xbaee, v0
	v_fmamk_f16 v65, v1, 0xbaee, v64
	v_fmac_f16_e32 v64, 0x3aee, v1
	v_lshrrev_b32_e32 v1, 16, v66
	v_pack_b32_f16 v65, v65, v67
	v_pack_b32_f16 v0, v64, v197
	ds_read2_b32 v[67:68], v124 offset0:88 offset1:196
	ds_read2_b32 v[69:70], v103 offset0:48 offset1:156
	;; [unrolled: 1-line block ×4, first 2 shown]
	s_waitcnt lgkmcnt(0)
	s_barrier
	buffer_gl0_inv
	ds_write_b32 v153, v0 offset:24
	v_add_f16_e32 v0, v79, v94
	ds_write2_b32 v153, v2, v65 offset1:3
	v_add_f16_e32 v2, v66, v79
	v_add_f16_e32 v65, v1, v134
	v_fmac_f16_e32 v66, -0.5, v0
	v_sub_f16_e32 v0, v134, v80
	v_fmamk_f16 v64, v0, 0xbaee, v66
	v_fmac_f16_e32 v66, 0x3aee, v0
	v_add_f16_e32 v0, v134, v80
	v_fmac_f16_e32 v1, -0.5, v0
	v_sub_f16_e32 v0, v79, v94
	v_fmamk_f16 v79, v0, 0x3aee, v1
	v_fmac_f16_e32 v1, 0xbaee, v0
	v_pack_b32_f16 v0, v66, v1
	v_add_f16_e32 v1, v2, v94
	v_add_f16_e32 v2, v65, v80
	;; [unrolled: 1-line block ×3, first 2 shown]
	v_sub_f16_e32 v66, v136, v137
	v_pack_b32_f16 v1, v1, v2
	v_pack_b32_f16 v2, v64, v79
	ds_write2_b32 v154, v1, v2 offset1:3
	ds_write_b32 v154, v0 offset:24
	v_lshrrev_b32_e32 v0, 16, v67
	v_add_f16_e32 v2, v133, v138
	v_sub_f16_e32 v64, v133, v138
	v_add_f16_e32 v1, v0, v133
	v_fmac_f16_e32 v0, -0.5, v2
	v_add_f16_e32 v2, v67, v136
	v_add_f16_e32 v1, v1, v138
	;; [unrolled: 1-line block ×3, first 2 shown]
	v_pack_b32_f16 v1, v2, v1
	v_fma_f16 v2, -0.5, v65, v67
	v_fmamk_f16 v67, v66, 0x3aee, v0
	v_fmac_f16_e32 v0, 0xbaee, v66
	v_fmamk_f16 v65, v64, 0xbaee, v2
	v_fmac_f16_e32 v2, 0x3aee, v64
	v_pack_b32_f16 v65, v65, v67
	v_pack_b32_f16 v0, v2, v0
	v_add_f16_e32 v2, v68, v75
	ds_write2_b32 v157, v1, v65 offset1:3
	ds_write_b32 v157, v0 offset:24
	v_add_f16_e32 v0, v75, v139
	v_lshrrev_b32_e32 v1, 16, v68
	v_fmac_f16_e32 v68, -0.5, v0
	v_sub_f16_e32 v0, v76, v140
	v_add_f16_e32 v65, v1, v76
	v_fmamk_f16 v64, v0, 0xbaee, v68
	v_fmac_f16_e32 v68, 0x3aee, v0
	v_add_f16_e32 v0, v76, v140
	v_fmac_f16_e32 v1, -0.5, v0
	v_sub_f16_e32 v0, v75, v139
	v_fmamk_f16 v66, v0, 0x3aee, v1
	v_fmac_f16_e32 v1, 0xbaee, v0
	v_pack_b32_f16 v0, v68, v1
	v_add_f16_e32 v1, v2, v139
	v_add_f16_e32 v2, v65, v140
	v_add_f16_e32 v65, v144, v146
	v_pack_b32_f16 v1, v1, v2
	v_pack_b32_f16 v2, v64, v66
	ds_write2_b32 v155, v1, v2 offset1:3
	ds_write_b32 v155, v0 offset:24
	v_lshrrev_b32_e32 v0, 16, v69
	v_add_f16_e32 v2, v141, v145
	v_sub_f16_e32 v64, v141, v145
	v_sub_f16_e32 v66, v144, v146
	v_add_f16_e32 v1, v0, v141
	v_fmac_f16_e32 v0, -0.5, v2
	v_add_f16_e32 v2, v69, v144
	v_add_f16_e32 v1, v1, v145
	v_fmamk_f16 v67, v66, 0x3aee, v0
	v_add_f16_e32 v2, v2, v146
	v_fmac_f16_e32 v0, 0xbaee, v66
	v_pack_b32_f16 v1, v2, v1
	v_fma_f16 v2, -0.5, v65, v69
	v_fmamk_f16 v65, v64, 0xbaee, v2
	v_fmac_f16_e32 v2, 0x3aee, v64
	v_pack_b32_f16 v65, v65, v67
	v_pack_b32_f16 v0, v2, v0
	v_add_f16_e32 v2, v70, v85
	ds_write2_b32 v156, v1, v65 offset1:3
	ds_write_b32 v156, v0 offset:24
	v_add_f16_e32 v0, v85, v86
	v_lshrrev_b32_e32 v1, 16, v70
	v_fmac_f16_e32 v70, -0.5, v0
	v_sub_f16_e32 v0, v83, v84
	v_add_f16_e32 v65, v1, v83
	v_fmamk_f16 v64, v0, 0xbaee, v70
	v_fmac_f16_e32 v70, 0x3aee, v0
	v_add_f16_e32 v0, v83, v84
	v_fmac_f16_e32 v1, -0.5, v0
	v_sub_f16_e32 v0, v85, v86
	v_fmamk_f16 v66, v0, 0x3aee, v1
	v_fmac_f16_e32 v1, 0xbaee, v0
	v_pack_b32_f16 v0, v70, v1
	v_add_f16_e32 v1, v2, v86
	v_add_f16_e32 v2, v65, v84
	v_add_f16_e32 v65, v148, v150
	v_pack_b32_f16 v1, v1, v2
	v_pack_b32_f16 v2, v64, v66
	ds_write2_b32 v158, v1, v2 offset1:3
	ds_write_b32 v158, v0 offset:24
	v_lshrrev_b32_e32 v0, 16, v71
	v_add_f16_e32 v2, v147, v149
	v_sub_f16_e32 v64, v147, v149
	v_sub_f16_e32 v66, v148, v150
	v_add_f16_e32 v1, v0, v147
	v_fmac_f16_e32 v0, -0.5, v2
	v_add_f16_e32 v2, v71, v148
	v_add_f16_e32 v1, v1, v149
	v_fmamk_f16 v67, v66, 0x3aee, v0
	v_add_f16_e32 v2, v2, v150
	v_fmac_f16_e32 v0, 0xbaee, v66
	v_pack_b32_f16 v1, v2, v1
	v_fma_f16 v2, -0.5, v65, v71
	;; [unrolled: 40-line block ×3, first 2 shown]
	v_fmamk_f16 v65, v64, 0xbaee, v2
	v_fmac_f16_e32 v2, 0x3aee, v64
	v_pack_b32_f16 v65, v65, v67
	v_pack_b32_f16 v0, v2, v0
	v_add_f16_e32 v2, v74, v193
	ds_write2_b32 v143, v1, v65 offset1:3
	ds_write_b32 v143, v0 offset:24
	v_add_f16_e32 v0, v193, v194
	v_lshrrev_b32_e32 v1, 16, v74
	v_fmac_f16_e32 v74, -0.5, v0
	v_sub_f16_e32 v0, v195, v196
	v_add_f16_e32 v65, v1, v195
	v_fmamk_f16 v64, v0, 0xbaee, v74
	v_fmac_f16_e32 v74, 0x3aee, v0
	v_add_f16_e32 v0, v195, v196
	v_fmac_f16_e32 v1, -0.5, v0
	v_sub_f16_e32 v0, v193, v194
	v_fmamk_f16 v66, v0, 0x3aee, v1
	v_fmac_f16_e32 v1, 0xbaee, v0
	v_pack_b32_f16 v0, v74, v1
	v_add_f16_e32 v1, v2, v194
	v_add_f16_e32 v2, v65, v196
	v_pack_b32_f16 v1, v1, v2
	v_pack_b32_f16 v2, v64, v66
	ds_write2_b32 v3, v1, v2 offset1:3
	ds_write_b32 v3, v0 offset:24
	s_waitcnt lgkmcnt(0)
	s_barrier
	buffer_gl0_inv
	ds_read2_b32 v[65:66], v124 offset0:88 offset1:196
	ds_read2_b32 v[68:69], v105 offset0:136 offset1:244
	;; [unrolled: 1-line block ×6, first 2 shown]
	s_waitcnt lgkmcnt(5)
	v_lshrrev_b32_e32 v0, 16, v66
	v_mul_f16_sdwa v1, v56, v66 dst_sel:DWORD dst_unused:UNUSED_PAD src0_sel:WORD_1 src1_sel:DWORD
	s_waitcnt lgkmcnt(2)
	v_lshrrev_b32_e32 v2, 16, v71
	v_mul_f16_sdwa v3, v63, v71 dst_sel:DWORD dst_unused:UNUSED_PAD src0_sel:WORD_1 src1_sel:DWORD
	v_mul_f16_sdwa v72, v56, v0 dst_sel:DWORD dst_unused:UNUSED_PAD src0_sel:WORD_1 src1_sel:DWORD
	v_fma_f16 v73, v56, v0, -v1
	v_lshrrev_b32_e32 v0, 16, v68
	v_mul_f16_sdwa v1, v57, v68 dst_sel:DWORD dst_unused:UNUSED_PAD src0_sel:WORD_1 src1_sel:DWORD
	v_fma_f16 v67, v63, v2, -v3
	v_fmac_f16_e32 v72, v56, v66
	v_mul_f16_sdwa v3, v5, v78 dst_sel:DWORD dst_unused:UNUSED_PAD src0_sel:WORD_1 src1_sel:DWORD
	v_mul_f16_sdwa v77, v57, v0 dst_sel:DWORD dst_unused:UNUSED_PAD src0_sel:WORD_1 src1_sel:DWORD
	v_fma_f16 v76, v57, v0, -v1
	v_lshrrev_b32_e32 v0, 16, v79
	v_mul_f16_sdwa v1, v58, v79 dst_sel:DWORD dst_unused:UNUSED_PAD src0_sel:WORD_1 src1_sel:DWORD
	v_fmac_f16_e32 v77, v57, v68
	ds_read2_b32 v[56:57], v103 offset0:48 offset1:156
	v_mul_f16_sdwa v75, v58, v0 dst_sel:DWORD dst_unused:UNUSED_PAD src0_sel:WORD_1 src1_sel:DWORD
	v_fma_f16 v74, v58, v0, -v1
	v_lshrrev_b32_e32 v0, 16, v70
	v_mul_f16_sdwa v1, v59, v70 dst_sel:DWORD dst_unused:UNUSED_PAD src0_sel:WORD_1 src1_sel:DWORD
	v_fmac_f16_e32 v75, v58, v79
	v_mul_f16_sdwa v85, v59, v0 dst_sel:DWORD dst_unused:UNUSED_PAD src0_sel:WORD_1 src1_sel:DWORD
	v_fma_f16 v82, v59, v0, -v1
	v_lshrrev_b32_e32 v0, 16, v69
	v_mul_f16_sdwa v1, v61, v69 dst_sel:DWORD dst_unused:UNUSED_PAD src0_sel:WORD_1 src1_sel:DWORD
	v_fmac_f16_e32 v85, v59, v70
	ds_read2_b32 v[58:59], v132 offset0:56 offset1:164
	v_mul_f16_sdwa v68, v61, v0 dst_sel:DWORD dst_unused:UNUSED_PAD src0_sel:WORD_1 src1_sel:DWORD
	v_fma_f16 v66, v61, v0, -v1
	v_fmac_f16_e32 v68, v61, v69
	v_mul_f16_sdwa v69, v63, v2 dst_sel:DWORD dst_unused:UNUSED_PAD src0_sel:WORD_1 src1_sel:DWORD
	s_waitcnt lgkmcnt(1)
	v_lshrrev_b32_e32 v0, 16, v56
	v_mul_f16_sdwa v1, v60, v56 dst_sel:DWORD dst_unused:UNUSED_PAD src0_sel:WORD_1 src1_sel:DWORD
	v_lshrrev_b32_e32 v2, 16, v78
	v_fmac_f16_e32 v69, v63, v71
	v_mul_f16_sdwa v61, v60, v0 dst_sel:DWORD dst_unused:UNUSED_PAD src0_sel:WORD_1 src1_sel:DWORD
	v_fma_f16 v63, v60, v0, -v1
	v_fmac_f16_e32 v61, v60, v56
	s_waitcnt lgkmcnt(0)
	v_lshrrev_b32_e32 v0, 16, v58
	v_mul_f16_sdwa v1, v62, v58 dst_sel:DWORD dst_unused:UNUSED_PAD src0_sel:WORD_1 src1_sel:DWORD
	v_lshrrev_b32_e32 v60, 16, v59
	v_mul_f16_sdwa v71, v62, v0 dst_sel:DWORD dst_unused:UNUSED_PAD src0_sel:WORD_1 src1_sel:DWORD
	v_fma_f16 v70, v62, v0, -v1
	v_lshrrev_b32_e32 v0, 16, v57
	v_mul_f16_sdwa v1, v4, v57 dst_sel:DWORD dst_unused:UNUSED_PAD src0_sel:WORD_1 src1_sel:DWORD
	v_fmac_f16_e32 v71, v62, v58
	v_mul_f16_sdwa v58, v6, v60 dst_sel:DWORD dst_unused:UNUSED_PAD src0_sel:WORD_1 src1_sel:DWORD
	v_mul_f16_sdwa v56, v4, v0 dst_sel:DWORD dst_unused:UNUSED_PAD src0_sel:WORD_1 src1_sel:DWORD
	v_fmac_f16_e32 v58, v6, v59
	v_fmac_f16_e32 v56, v4, v57
	v_mul_f16_sdwa v57, v5, v2 dst_sel:DWORD dst_unused:UNUSED_PAD src0_sel:WORD_1 src1_sel:DWORD
	v_mul_f16_sdwa v59, v6, v59 dst_sel:DWORD dst_unused:UNUSED_PAD src0_sel:WORD_1 src1_sel:DWORD
	v_fma_f16 v4, v4, v0, -v1
	v_fmac_f16_e32 v57, v5, v78
	ds_read2_b32 v[78:79], v111 offset0:104 offset1:212
	v_fma_f16 v59, v6, v60, -v59
	v_fma_f16 v5, v5, v2, -v3
	v_lshrrev_b32_e32 v2, 16, v84
	v_mul_f16_sdwa v3, v55, v84 dst_sel:DWORD dst_unused:UNUSED_PAD src0_sel:WORD_1 src1_sel:DWORD
	v_mul_f16_sdwa v81, v55, v2 dst_sel:DWORD dst_unused:UNUSED_PAD src0_sel:WORD_1 src1_sel:DWORD
	v_fmac_f16_e32 v81, v55, v84
	v_fma_f16 v55, v55, v2, -v3
	v_lshrrev_b32_e32 v2, 16, v143
	v_mul_f16_sdwa v3, v88, v143 dst_sel:DWORD dst_unused:UNUSED_PAD src0_sel:WORD_1 src1_sel:DWORD
	s_waitcnt lgkmcnt(0)
	v_lshrrev_b32_e32 v0, 16, v78
	v_mul_f16_sdwa v1, v7, v78 dst_sel:DWORD dst_unused:UNUSED_PAD src0_sel:WORD_1 src1_sel:DWORD
	v_mul_f16_sdwa v60, v7, v0 dst_sel:DWORD dst_unused:UNUSED_PAD src0_sel:WORD_1 src1_sel:DWORD
	v_fma_f16 v6, v7, v0, -v1
	v_lshrrev_b32_e32 v0, 16, v79
	v_mul_f16_sdwa v1, v36, v79 dst_sel:DWORD dst_unused:UNUSED_PAD src0_sel:WORD_1 src1_sel:DWORD
	v_fmac_f16_e32 v60, v7, v78
	v_fma_f16 v7, v88, v2, -v3
	v_mul_f16_sdwa v134, v36, v0 dst_sel:DWORD dst_unused:UNUSED_PAD src0_sel:WORD_1 src1_sel:DWORD
	v_fma_f16 v86, v36, v0, -v1
	v_fmac_f16_e32 v134, v36, v79
	ds_read2_b32 v[78:79], v213 offset0:24 offset1:132
	s_waitcnt lgkmcnt(0)
	v_lshrrev_b32_e32 v0, 16, v78
	v_mul_f16_sdwa v1, v37, v78 dst_sel:DWORD dst_unused:UNUSED_PAD src0_sel:WORD_1 src1_sel:DWORD
	v_mul_f16_sdwa v138, v37, v0 dst_sel:DWORD dst_unused:UNUSED_PAD src0_sel:WORD_1 src1_sel:DWORD
	v_fma_f16 v137, v37, v0, -v1
	v_lshrrev_b32_e32 v0, 16, v144
	v_mul_f16_sdwa v1, v38, v144 dst_sel:DWORD dst_unused:UNUSED_PAD src0_sel:WORD_1 src1_sel:DWORD
	v_fmac_f16_e32 v138, v37, v78
	ds_read2_b32 v[36:37], v214 offset0:64 offset1:172
	v_mul_f16_sdwa v136, v38, v0 dst_sel:DWORD dst_unused:UNUSED_PAD src0_sel:WORD_1 src1_sel:DWORD
	v_fma_f16 v133, v38, v0, -v1
	v_lshrrev_b32_e32 v0, 16, v83
	v_mul_f16_sdwa v1, v39, v83 dst_sel:DWORD dst_unused:UNUSED_PAD src0_sel:WORD_1 src1_sel:DWORD
	v_add_f16_e32 v94, v82, v137
	v_fmac_f16_e32 v136, v38, v144
	v_sub_f16_e32 v149, v86, v133
	v_mul_f16_sdwa v140, v39, v0 dst_sel:DWORD dst_unused:UNUSED_PAD src0_sel:WORD_1 src1_sel:DWORD
	v_fma_f16 v139, v39, v0, -v1
	v_lshrrev_b32_e32 v0, 16, v79
	v_mul_f16_sdwa v1, v53, v79 dst_sel:DWORD dst_unused:UNUSED_PAD src0_sel:WORD_1 src1_sel:DWORD
	v_sub_f16_e32 v148, v134, v136
	v_fmac_f16_e32 v140, v39, v83
	ds_read2_b32 v[38:39], v122 offset0:72 offset1:180
	v_mul_f16_sdwa v78, v53, v0 dst_sel:DWORD dst_unused:UNUSED_PAD src0_sel:WORD_1 src1_sel:DWORD
	v_fma_f16 v62, v53, v0, -v1
	v_sub_f16_e32 v192, v85, v138
	v_sub_f16_e32 v162, v77, v140
	s_waitcnt lgkmcnt(1)
	v_lshrrev_b32_e32 v0, 16, v36
	v_mul_f16_sdwa v1, v52, v36 dst_sel:DWORD dst_unused:UNUSED_PAD src0_sel:WORD_1 src1_sel:DWORD
	v_fmac_f16_e32 v78, v53, v79
	v_mul_f16_sdwa v83, v52, v0 dst_sel:DWORD dst_unused:UNUSED_PAD src0_sel:WORD_1 src1_sel:DWORD
	v_fma_f16 v79, v52, v0, -v1
	v_fmac_f16_e32 v83, v52, v36
	v_mul_f16_sdwa v52, v88, v2 dst_sel:DWORD dst_unused:UNUSED_PAD src0_sel:WORD_1 src1_sel:DWORD
	s_waitcnt lgkmcnt(0)
	v_lshrrev_b32_e32 v0, 16, v38
	v_mul_f16_sdwa v1, v54, v38 dst_sel:DWORD dst_unused:UNUSED_PAD src0_sel:WORD_1 src1_sel:DWORD
	v_lshrrev_b32_e32 v53, 16, v39
	v_fmac_f16_e32 v52, v88, v143
	v_add_f16_e32 v88, v72, v75
	v_mul_f16_sdwa v84, v54, v0 dst_sel:DWORD dst_unused:UNUSED_PAD src0_sel:WORD_1 src1_sel:DWORD
	v_fma_f16 v80, v54, v0, -v1
	v_lshrrev_b32_e32 v0, 16, v37
	v_mul_f16_sdwa v1, v87, v37 dst_sel:DWORD dst_unused:UNUSED_PAD src0_sel:WORD_1 src1_sel:DWORD
	v_add_f16_e32 v88, v88, v134
	v_fmac_f16_e32 v84, v54, v38
	v_mul_f16_sdwa v38, v89, v53 dst_sel:DWORD dst_unused:UNUSED_PAD src0_sel:WORD_1 src1_sel:DWORD
	v_mul_f16_sdwa v36, v87, v0 dst_sel:DWORD dst_unused:UNUSED_PAD src0_sel:WORD_1 src1_sel:DWORD
	v_add_f16_e32 v88, v88, v136
	v_fmac_f16_e32 v38, v89, v39
	v_fmac_f16_e32 v36, v87, v37
	v_fma_f16 v37, v87, v0, -v1
	ds_read2_b32 v[0:1], v93 offset0:120 offset1:228
	v_mul_f16_sdwa v39, v89, v39 dst_sel:DWORD dst_unused:UNUSED_PAD src0_sel:WORD_1 src1_sel:DWORD
	v_fma_f16 v39, v89, v53, -v39
	v_add_f16_e32 v89, v73, v74
	v_add_f16_e32 v89, v89, v86
	;; [unrolled: 1-line block ×3, first 2 shown]
	s_waitcnt lgkmcnt(0)
	v_lshrrev_b32_e32 v3, 16, v0
	v_mul_f16_sdwa v2, v90, v0 dst_sel:DWORD dst_unused:UNUSED_PAD src0_sel:WORD_1 src1_sel:DWORD
	v_mul_f16_sdwa v53, v90, v3 dst_sel:DWORD dst_unused:UNUSED_PAD src0_sel:WORD_1 src1_sel:DWORD
	v_fma_f16 v2, v90, v3, -v2
	v_fmac_f16_e32 v53, v90, v0
	v_lshrrev_b32_e32 v0, 16, v1
	v_sub_f16_e32 v90, v82, v137
	v_mul_f16_sdwa v141, v189, v0 dst_sel:DWORD dst_unused:UNUSED_PAD src0_sel:WORD_1 src1_sel:DWORD
	v_fmac_f16_e32 v141, v189, v1
	v_mul_f16_sdwa v1, v189, v1 dst_sel:DWORD dst_unused:UNUSED_PAD src0_sel:WORD_1 src1_sel:DWORD
	v_sub_f16_e32 v150, v75, v141
	v_fma_f16 v54, v189, v0, -v1
	v_sub_f16_e32 v0, v77, v85
	v_sub_f16_e32 v1, v140, v138
	v_add_f16_e32 v157, v88, v141
	v_sub_f16_e32 v88, v76, v139
	v_sub_f16_e32 v151, v74, v54
	v_add_f16_e32 v158, v89, v54
	v_add_f16_e32 v3, v0, v1
	v_sub_f16_e32 v0, v76, v82
	v_sub_f16_e32 v1, v139, v137
	v_add_f16_e32 v143, v0, v1
	v_sub_f16_e32 v0, v75, v134
	v_sub_f16_e32 v1, v141, v136
	;; [unrolled: 3-line block ×3, first 2 shown]
	v_add_f16_e32 v147, v0, v1
	v_add_f16_e32 v0, v134, v136
	v_fma_f16 v145, -0.5, v0, v72
	v_add_f16_e32 v0, v86, v133
	v_fmamk_f16 v1, v151, 0xbb9c, v145
	v_fma_f16 v146, -0.5, v0, v73
	v_fmac_f16_e32 v145, 0x3b9c, v151
	v_fmac_f16_e32 v1, 0xb8b4, v149
	v_fmamk_f16 v0, v150, 0x3b9c, v146
	v_fmac_f16_e32 v146, 0xbb9c, v150
	v_fmac_f16_e32 v145, 0x38b4, v149
	;; [unrolled: 1-line block ×8, first 2 shown]
	v_mul_f16_e32 v152, 0xb8b4, v0
	v_mul_f16_e32 v154, 0x3a79, v0
	v_fmac_f16_e32 v152, 0x3a79, v1
	v_fmac_f16_e32 v154, 0x38b4, v1
	ds_read2_b32 v[0:1], v130 offset1:108
	s_waitcnt lgkmcnt(0)
	v_lshrrev_b32_e32 v153, 16, v0
	v_add_f16_e32 v64, v0, v77
	v_add_f16_e32 v87, v153, v76
	v_add_f16_e32 v64, v64, v85
	v_fma_f16 v94, -0.5, v94, v153
	v_add_f16_e32 v87, v87, v82
	v_add_f16_e32 v64, v64, v138
	v_fmamk_f16 v189, v162, 0x3b9c, v94
	v_sub_f16_e32 v82, v82, v76
	v_add_f16_e32 v76, v76, v139
	v_add_f16_e32 v87, v87, v137
	;; [unrolled: 1-line block ×3, first 2 shown]
	v_fmac_f16_e32 v189, 0x38b4, v192
	v_fmac_f16_e32 v94, 0xbb9c, v162
	v_fmac_f16_e32 v153, -0.5, v76
	v_add_f16_e32 v156, v87, v139
	v_add_f16_e32 v64, v155, v157
	v_fmac_f16_e32 v189, 0x34f2, v143
	v_sub_f16_e32 v76, v134, v75
	v_add_f16_e32 v75, v75, v141
	v_add_f16_e32 v87, v156, v158
	v_fmac_f16_e32 v94, 0xb8b4, v192
	v_add_f16_e32 v160, v189, v154
	v_fmac_f16_e32 v72, -0.5, v75
	v_pack_b32_f16 v64, v64, v87
	v_add_f16_e32 v87, v85, v138
	v_add_f16_e32 v75, v74, v54
	v_sub_f16_e32 v74, v86, v74
	v_sub_f16_e32 v54, v133, v54
	v_fmac_f16_e32 v94, 0x34f2, v143
	v_fma_f16 v87, -0.5, v87, v0
	v_fmac_f16_e32 v73, -0.5, v75
	v_fmamk_f16 v75, v149, 0x3b9c, v72
	v_fmac_f16_e32 v72, 0xbb9c, v149
	v_add_f16_e32 v54, v74, v54
	v_fmamk_f16 v89, v88, 0xbb9c, v87
	v_fmac_f16_e32 v87, 0x3b9c, v88
	v_fmac_f16_e32 v75, 0xb8b4, v151
	;; [unrolled: 1-line block ×7, first 2 shown]
	v_mul_f16_e32 v3, 0xb8b4, v146
	v_add_f16_e32 v159, v89, v152
	v_fmac_f16_e32 v3, 0xba79, v145
	v_pack_b32_f16 v193, v159, v160
	ds_read2_b32 v[159:160], v91 offset0:80 offset1:188
	s_waitcnt lgkmcnt(0)
	s_barrier
	buffer_gl0_inv
	ds_write2_b32 v166, v64, v193 offset1:9
	v_sub_f16_e32 v64, v85, v77
	v_add_f16_e32 v77, v77, v140
	v_sub_f16_e32 v85, v138, v140
	v_fma_f16 v0, -0.5, v77, v0
	v_add_f16_e32 v64, v64, v85
	v_sub_f16_e32 v85, v137, v139
	v_sub_f16_e32 v139, v81, v78
	v_fmamk_f16 v77, v90, 0x3b9c, v0
	v_fmac_f16_e32 v0, 0xbb9c, v90
	v_fmac_f16_e32 v77, 0xb8b4, v88
	;; [unrolled: 1-line block ×3, first 2 shown]
	v_sub_f16_e32 v88, v66, v55
	v_fmac_f16_e32 v77, 0x34f2, v64
	v_fmac_f16_e32 v0, 0x34f2, v64
	v_add_f16_e32 v64, v82, v85
	v_fmamk_f16 v85, v192, 0xbb9c, v153
	v_fmac_f16_e32 v153, 0x3b9c, v192
	v_sub_f16_e32 v82, v136, v141
	v_fmac_f16_e32 v85, 0x38b4, v162
	v_fmac_f16_e32 v153, 0xb8b4, v162
	v_fmac_f16_e32 v85, 0x34f2, v64
	v_fmac_f16_e32 v153, 0x34f2, v64
	v_add_f16_e32 v64, v76, v82
	v_add_f16_e32 v82, v87, v3
	v_sub_f16_e32 v3, v87, v3
	v_fmac_f16_e32 v75, 0x34f2, v64
	v_fmac_f16_e32 v72, 0x34f2, v64
	v_fmamk_f16 v64, v148, 0xbb9c, v73
	v_fmac_f16_e32 v73, 0x3b9c, v148
	v_fmac_f16_e32 v64, 0x38b4, v150
	;; [unrolled: 1-line block ×5, first 2 shown]
	v_mul_f16_e32 v54, 0xbb9c, v64
	v_mul_f16_e32 v64, 0x34f2, v64
	;; [unrolled: 1-line block ×4, first 2 shown]
	v_fmac_f16_e32 v54, 0x34f2, v75
	v_fmac_f16_e32 v64, 0x3b9c, v75
	;; [unrolled: 1-line block ×4, first 2 shown]
	v_add_f16_e32 v72, v77, v54
	v_add_f16_e32 v75, v85, v64
	v_sub_f16_e32 v54, v77, v54
	v_add_f16_e32 v76, v153, v73
	v_sub_f16_e32 v64, v85, v64
	v_add_f16_e32 v85, v63, v70
	v_pack_b32_f16 v72, v72, v75
	v_add_f16_e32 v75, v0, v74
	v_sub_f16_e32 v0, v0, v74
	v_pack_b32_f16 v54, v54, v64
	v_sub_f16_e32 v74, v78, v81
	v_pack_b32_f16 v75, v75, v76
	v_sub_f16_e32 v76, v156, v158
	ds_write2_b32 v166, v72, v75 offset0:18 offset1:27
	v_mul_f16_e32 v72, 0xba79, v146
	v_sub_f16_e32 v75, v155, v157
	v_fmac_f16_e32 v72, 0x38b4, v145
	v_pack_b32_f16 v75, v75, v76
	v_sub_f16_e32 v76, v189, v154
	v_add_f16_e32 v86, v94, v72
	v_sub_f16_e32 v64, v94, v72
	v_lshrrev_b32_e32 v72, 16, v1
	v_sub_f16_e32 v94, v83, v84
	v_pack_b32_f16 v82, v82, v86
	v_pack_b32_f16 v3, v3, v64
	v_add_f16_e32 v64, v68, v81
	ds_write2_b32 v166, v82, v75 offset0:36 offset1:45
	v_sub_f16_e32 v75, v89, v152
	v_sub_f16_e32 v89, v79, v80
	v_pack_b32_f16 v75, v75, v76
	v_add_f16_e32 v76, v61, v71
	ds_write2_b32 v166, v75, v54 offset0:54 offset1:63
	v_sub_f16_e32 v54, v153, v73
	v_add_f16_e32 v73, v1, v68
	v_add_f16_e32 v76, v76, v83
	v_pack_b32_f16 v0, v0, v54
	v_add_f16_e32 v54, v69, v78
	v_add_f16_e32 v73, v73, v69
	;; [unrolled: 1-line block ×3, first 2 shown]
	ds_write2_b32 v166, v0, v3 offset0:72 offset1:81
	v_lshrrev_b32_e32 v0, 16, v159
	v_mul_f16_sdwa v3, v161, v159 dst_sel:DWORD dst_unused:UNUSED_PAD src0_sel:WORD_1 src1_sel:DWORD
	v_fma_f16 v54, -0.5, v54, v1
	v_fmac_f16_e32 v1, -0.5, v64
	v_sub_f16_e32 v64, v69, v68
	v_add_f16_e32 v73, v73, v78
	v_fma_f16 v3, v161, v0, -v3
	v_mul_f16_sdwa v0, v161, v0 dst_sel:DWORD dst_unused:UNUSED_PAD src0_sel:WORD_1 src1_sel:DWORD
	v_add_f16_e32 v64, v64, v74
	v_add_f16_e32 v74, v83, v84
	;; [unrolled: 1-line block ×3, first 2 shown]
	v_fmac_f16_e32 v0, v161, v159
	v_sub_f16_e32 v86, v80, v3
	v_sub_f16_e32 v136, v70, v3
	v_fma_f16 v74, -0.5, v74, v61
	v_add_f16_e32 v73, v73, v81
	v_add_f16_e32 v75, v71, v0
	v_sub_f16_e32 v77, v84, v0
	v_sub_f16_e32 v134, v71, v0
	v_fmac_f16_e32 v61, -0.5, v75
	v_sub_f16_e32 v75, v83, v71
	v_sub_f16_e32 v71, v71, v83
	v_fmamk_f16 v90, v89, 0x3b9c, v61
	v_add_f16_e32 v75, v75, v77
	v_add_f16_e32 v77, v79, v80
	v_fmac_f16_e32 v61, 0xbb9c, v89
	v_fmac_f16_e32 v90, 0xb8b4, v136
	v_fma_f16 v77, -0.5, v77, v63
	v_fmac_f16_e32 v63, -0.5, v82
	v_sub_f16_e32 v82, v79, v70
	v_fmac_f16_e32 v61, 0x38b4, v136
	v_sub_f16_e32 v70, v70, v79
	v_fmac_f16_e32 v90, 0x34f2, v75
	v_fmamk_f16 v133, v94, 0xbb9c, v63
	v_fmac_f16_e32 v63, 0x3b9c, v94
	v_add_f16_e32 v82, v82, v86
	v_sub_f16_e32 v86, v67, v62
	v_fmac_f16_e32 v61, 0x34f2, v75
	v_fmac_f16_e32 v133, 0x38b4, v134
	;; [unrolled: 1-line block ×3, first 2 shown]
	v_fmamk_f16 v87, v86, 0x3b9c, v1
	v_fmac_f16_e32 v1, 0xbb9c, v86
	v_fmac_f16_e32 v133, 0x34f2, v82
	;; [unrolled: 1-line block ×5, first 2 shown]
	v_mul_f16_e32 v137, 0xbb9c, v63
	v_mul_f16_e32 v63, 0xb4f2, v63
	v_fmac_f16_e32 v87, 0x34f2, v64
	v_fmac_f16_e32 v1, 0x34f2, v64
	v_mul_f16_e32 v64, 0x34f2, v133
	v_fmac_f16_e32 v137, 0xb4f2, v61
	v_fmac_f16_e32 v63, 0x3b9c, v61
	;; [unrolled: 1-line block ×3, first 2 shown]
	v_add_f16_e32 v138, v1, v137
	v_sub_f16_e32 v1, v1, v137
	v_sub_f16_e32 v137, v68, v69
	;; [unrolled: 1-line block ×6, first 2 shown]
	v_add_f16_e32 v137, v137, v139
	v_add_f16_e32 v78, v78, v81
	v_sub_f16_e32 v81, v0, v84
	v_add_f16_e32 v0, v76, v0
	v_add_f16_e32 v76, v85, v79
	v_sub_f16_e32 v79, v3, v80
	v_fmamk_f16 v84, v88, 0xbb9c, v54
	v_add_f16_e32 v71, v71, v81
	v_add_f16_e32 v81, v73, v0
	;; [unrolled: 1-line block ×4, first 2 shown]
	v_fmamk_f16 v79, v136, 0xbb9c, v74
	v_fmac_f16_e32 v84, 0xb8b4, v86
	v_fmac_f16_e32 v74, 0x3b9c, v136
	v_add_f16_e32 v3, v76, v3
	v_fmamk_f16 v76, v134, 0x3b9c, v77
	v_fmac_f16_e32 v79, 0xb8b4, v89
	v_fmac_f16_e32 v84, 0x34f2, v137
	;; [unrolled: 1-line block ×10, first 2 shown]
	v_sub_f16_e32 v0, v73, v0
	v_fmac_f16_e32 v74, 0x34f2, v71
	v_fmac_f16_e32 v77, 0x34f2, v70
	;; [unrolled: 1-line block ×3, first 2 shown]
	v_mul_f16_e32 v80, 0xb8b4, v76
	v_mul_f16_e32 v76, 0x3a79, v76
	v_sub_f16_e32 v71, v5, v2
	v_fmac_f16_e32 v80, 0x3a79, v79
	v_fmac_f16_e32 v76, 0x38b4, v79
	v_add_f16_e32 v79, v72, v66
	v_add_f16_e32 v139, v84, v80
	;; [unrolled: 1-line block ×6, first 2 shown]
	v_sub_f16_e32 v3, v79, v3
	v_pack_b32_f16 v81, v81, v83
	v_add_f16_e32 v83, v67, v62
	v_pack_b32_f16 v0, v0, v3
	v_fma_f16 v83, -0.5, v83, v72
	v_fmamk_f16 v85, v68, 0x3b9c, v83
	v_fmac_f16_e32 v83, 0xbb9c, v68
	v_fmac_f16_e32 v85, 0x38b4, v69
	;; [unrolled: 1-line block ×5, first 2 shown]
	v_add_f16_e32 v140, v85, v76
	v_pack_b32_f16 v139, v139, v140
	ds_write2_b32 v165, v81, v139 offset1:9
	v_add_f16_e32 v81, v66, v55
	v_sub_f16_e32 v66, v67, v66
	v_sub_f16_e32 v55, v62, v55
	v_fmac_f16_e32 v72, -0.5, v81
	v_add_f16_e32 v55, v66, v55
	v_fmamk_f16 v62, v69, 0xbb9c, v72
	v_fmac_f16_e32 v72, 0x3b9c, v69
	v_fmac_f16_e32 v62, 0x38b4, v68
	;; [unrolled: 1-line block ×5, first 2 shown]
	v_mul_f16_e32 v55, 0xbb9c, v133
	v_add_f16_e32 v66, v62, v64
	v_sub_f16_e32 v62, v62, v64
	v_fmac_f16_e32 v55, 0x34f2, v90
	v_add_f16_e32 v64, v56, v58
	v_add_f16_e32 v61, v87, v55
	v_sub_f16_e32 v3, v87, v55
	v_sub_f16_e32 v55, v85, v76
	v_pack_b32_f16 v61, v61, v66
	v_add_f16_e32 v66, v72, v63
	v_pack_b32_f16 v3, v3, v62
	v_sub_f16_e32 v62, v52, v53
	v_pack_b32_f16 v66, v138, v66
	ds_write2_b32 v165, v61, v66 offset0:18 offset1:27
	v_mul_f16_e32 v61, 0xb8b4, v77
	v_mul_f16_e32 v66, 0xba79, v77
	v_fmac_f16_e32 v61, 0xba79, v74
	v_fmac_f16_e32 v66, 0x38b4, v74
	v_sub_f16_e32 v74, v36, v38
	v_add_f16_e32 v67, v54, v61
	v_add_f16_e32 v68, v83, v66
	v_pack_b32_f16 v67, v67, v68
	v_add_f16_e32 v68, v4, v59
	ds_write2_b32 v165, v67, v0 offset0:36 offset1:45
	v_sub_f16_e32 v0, v84, v80
	v_sub_f16_e32 v80, v53, v52
	v_pack_b32_f16 v0, v0, v55
	v_lshrrev_b32_e32 v55, 16, v65
	ds_write2_b32 v165, v0, v3 offset0:54 offset1:63
	v_sub_f16_e32 v0, v54, v61
	v_sub_f16_e32 v3, v72, v63
	;; [unrolled: 1-line block ×3, first 2 shown]
	v_add_f16_e32 v61, v65, v57
	v_sub_f16_e32 v72, v37, v39
	v_pack_b32_f16 v1, v1, v3
	v_pack_b32_f16 v0, v0, v54
	v_mul_f16_sdwa v3, v135, v160 dst_sel:DWORD dst_unused:UNUSED_PAD src0_sel:WORD_1 src1_sel:DWORD
	v_add_f16_e32 v54, v57, v53
	v_add_f16_e32 v61, v61, v60
	ds_write2_b32 v165, v1, v0 offset0:72 offset1:81
	v_lshrrev_b32_e32 v0, 16, v160
	v_add_f16_e32 v61, v61, v52
	v_mul_f16_sdwa v1, v135, v0 dst_sel:DWORD dst_unused:UNUSED_PAD src0_sel:WORD_1 src1_sel:DWORD
	v_fma_f16 v0, v135, v0, -v3
	v_add_f16_e32 v3, v60, v52
	v_add_f16_e32 v61, v61, v53
	v_sub_f16_e32 v53, v57, v53
	v_fmac_f16_e32 v1, v135, v160
	v_add_f16_e32 v67, v59, v0
	v_fma_f16 v3, -0.5, v3, v65
	v_fmac_f16_e32 v65, -0.5, v54
	v_sub_f16_e32 v54, v60, v57
	v_add_f16_e32 v63, v58, v1
	v_sub_f16_e32 v66, v38, v1
	v_sub_f16_e32 v69, v39, v0
	;; [unrolled: 1-line block ×3, first 2 shown]
	v_add_f16_e32 v54, v54, v62
	v_add_f16_e32 v62, v36, v38
	v_sub_f16_e32 v77, v59, v0
	v_sub_f16_e32 v52, v60, v52
	v_fma_f16 v62, -0.5, v62, v56
	v_fmac_f16_e32 v56, -0.5, v63
	v_sub_f16_e32 v63, v36, v58
	v_fmamk_f16 v73, v72, 0x3b9c, v56
	v_add_f16_e32 v63, v63, v66
	v_add_f16_e32 v66, v37, v39
	v_fmac_f16_e32 v56, 0xbb9c, v72
	v_fmac_f16_e32 v73, 0xb8b4, v77
	v_fma_f16 v66, -0.5, v66, v4
	v_fmac_f16_e32 v4, -0.5, v67
	v_sub_f16_e32 v67, v37, v59
	v_fmac_f16_e32 v56, 0x38b4, v77
	v_fmac_f16_e32 v73, 0x34f2, v63
	v_fmamk_f16 v75, v74, 0xbb9c, v4
	v_fmac_f16_e32 v4, 0x3b9c, v74
	v_add_f16_e32 v67, v67, v69
	v_sub_f16_e32 v69, v6, v7
	v_fmac_f16_e32 v56, 0x34f2, v63
	v_fmac_f16_e32 v75, 0x38b4, v76
	;; [unrolled: 1-line block ×3, first 2 shown]
	v_fmamk_f16 v70, v69, 0x3b9c, v65
	v_fmac_f16_e32 v65, 0xbb9c, v69
	v_fmac_f16_e32 v75, 0x34f2, v67
	;; [unrolled: 1-line block ×5, first 2 shown]
	v_mul_f16_e32 v78, 0xbb9c, v4
	v_mul_f16_e32 v4, 0xb4f2, v4
	v_fmac_f16_e32 v70, 0x34f2, v54
	v_fmac_f16_e32 v65, 0x34f2, v54
	v_fmac_f16_e32 v78, 0xb4f2, v56
	v_fmac_f16_e32 v4, 0x3b9c, v56
	v_add_f16_e32 v79, v65, v78
	v_sub_f16_e32 v65, v65, v78
	v_sub_f16_e32 v78, v57, v60
	;; [unrolled: 1-line block ×4, first 2 shown]
	v_add_f16_e32 v78, v78, v80
	v_add_f16_e32 v57, v57, v60
	;; [unrolled: 1-line block ×3, first 2 shown]
	v_sub_f16_e32 v36, v58, v36
	v_fmamk_f16 v64, v71, 0xbb9c, v3
	v_fmac_f16_e32 v3, 0x3b9c, v71
	v_add_f16_e32 v58, v60, v38
	v_sub_f16_e32 v38, v1, v38
	v_fmac_f16_e32 v64, 0xb8b4, v69
	v_fmac_f16_e32 v3, 0x38b4, v69
	v_add_f16_e32 v1, v58, v1
	v_add_f16_e32 v36, v36, v38
	;; [unrolled: 1-line block ×3, first 2 shown]
	v_sub_f16_e32 v37, v59, v37
	v_fmac_f16_e32 v64, 0x34f2, v78
	v_add_f16_e32 v59, v61, v1
	v_fmac_f16_e32 v3, 0x34f2, v78
	v_add_f16_e32 v38, v38, v39
	v_sub_f16_e32 v39, v0, v39
	v_sub_f16_e32 v1, v61, v1
	v_add_f16_e32 v0, v38, v0
	v_fmamk_f16 v38, v76, 0x3b9c, v66
	v_add_f16_e32 v37, v37, v39
	v_fmamk_f16 v39, v77, 0xbb9c, v62
	v_fmac_f16_e32 v66, 0xbb9c, v76
	v_fmac_f16_e32 v62, 0x3b9c, v77
	;; [unrolled: 1-line block ×10, first 2 shown]
	v_mul_f16_e32 v58, 0xb8b4, v38
	v_mul_f16_e32 v38, 0x3a79, v38
	;; [unrolled: 1-line block ×3, first 2 shown]
	v_fmac_f16_e32 v58, 0x3a79, v39
	v_fmac_f16_e32 v38, 0x38b4, v39
	v_add_f16_e32 v39, v55, v5
	v_fmac_f16_e32 v36, 0x38b4, v62
	v_add_f16_e32 v80, v64, v58
	v_add_f16_e32 v39, v39, v6
	;; [unrolled: 1-line block ×5, first 2 shown]
	v_sub_f16_e32 v0, v39, v0
	v_pack_b32_f16 v59, v59, v60
	v_add_f16_e32 v60, v6, v7
	v_pack_b32_f16 v0, v1, v0
	v_fma_f16 v60, -0.5, v60, v55
	v_fmamk_f16 v68, v53, 0x3b9c, v60
	v_fmac_f16_e32 v60, 0xbb9c, v53
	v_fmac_f16_e32 v68, 0x38b4, v52
	;; [unrolled: 1-line block ×5, first 2 shown]
	v_add_f16_e32 v81, v68, v38
	v_add_f16_e32 v39, v60, v36
	v_pack_b32_f16 v80, v80, v81
	ds_write2_b32 v164, v59, v80 offset1:9
	v_add_f16_e32 v59, v5, v2
	v_sub_f16_e32 v5, v6, v5
	v_sub_f16_e32 v2, v7, v2
	v_mul_f16_e32 v6, 0x34f2, v75
	v_fmac_f16_e32 v55, -0.5, v59
	v_add_f16_e32 v2, v5, v2
	v_fmac_f16_e32 v6, 0x3b9c, v73
	v_fmamk_f16 v5, v52, 0xbb9c, v55
	v_fmac_f16_e32 v55, 0x3b9c, v52
	v_fmac_f16_e32 v5, 0x38b4, v53
	;; [unrolled: 1-line block ×5, first 2 shown]
	v_mul_f16_e32 v2, 0xbb9c, v75
	v_add_f16_e32 v54, v5, v6
	v_sub_f16_e32 v5, v5, v6
	v_fmac_f16_e32 v2, 0x34f2, v73
	v_add_f16_e32 v7, v70, v2
	v_sub_f16_e32 v1, v70, v2
	v_sub_f16_e32 v2, v68, v38
	v_pack_b32_f16 v7, v7, v54
	v_add_f16_e32 v54, v55, v4
	v_pack_b32_f16 v1, v1, v5
	v_pack_b32_f16 v54, v79, v54
	ds_write2_b32 v164, v7, v54 offset0:18 offset1:27
	v_mul_f16_e32 v7, 0xb8b4, v66
	v_fmac_f16_e32 v7, 0xba79, v62
	v_add_f16_e32 v37, v3, v7
	v_pack_b32_f16 v37, v37, v39
	ds_write2_b32 v164, v37, v0 offset0:36 offset1:45
	v_sub_f16_e32 v0, v64, v58
	v_pack_b32_f16 v0, v0, v2
	v_sub_f16_e32 v2, v60, v36
	ds_write2_b32 v164, v0, v1 offset0:54 offset1:63
	v_sub_f16_e32 v0, v3, v7
	v_sub_f16_e32 v1, v55, v4
	v_pack_b32_f16 v0, v0, v2
	v_pack_b32_f16 v1, v65, v1
	ds_write2_b32 v164, v1, v0 offset0:72 offset1:81
	s_waitcnt lgkmcnt(0)
	s_barrier
	buffer_gl0_inv
	ds_read2_b32 v[0:1], v103 offset0:48 offset1:156
	s_waitcnt lgkmcnt(0)
	v_lshrrev_b32_e32 v2, 16, v1
	v_mul_f16_sdwa v3, v16, v1 dst_sel:DWORD dst_unused:UNUSED_PAD src0_sel:WORD_1 src1_sel:DWORD
	v_mul_f16_sdwa v52, v16, v2 dst_sel:DWORD dst_unused:UNUSED_PAD src0_sel:WORD_1 src1_sel:DWORD
	v_fma_f16 v53, v16, v2, -v3
	ds_read2_b32 v[2:3], v132 offset0:56 offset1:164
	v_fmac_f16_e32 v52, v16, v1
	s_waitcnt lgkmcnt(0)
	v_lshrrev_b32_e32 v4, 16, v2
	v_mul_f16_sdwa v5, v17, v2 dst_sel:DWORD dst_unused:UNUSED_PAD src0_sel:WORD_1 src1_sel:DWORD
	v_lshrrev_b32_e32 v1, 16, v3
	v_mul_f16_sdwa v58, v17, v4 dst_sel:DWORD dst_unused:UNUSED_PAD src0_sel:WORD_1 src1_sel:DWORD
	v_fma_f16 v57, v17, v4, -v5
	ds_read2_b32 v[4:5], v111 offset0:104 offset1:212
	v_mul_f16_sdwa v54, v21, v1 dst_sel:DWORD dst_unused:UNUSED_PAD src0_sel:WORD_1 src1_sel:DWORD
	v_fmac_f16_e32 v58, v17, v2
	v_mul_f16_sdwa v2, v21, v3 dst_sel:DWORD dst_unused:UNUSED_PAD src0_sel:WORD_1 src1_sel:DWORD
	v_fmac_f16_e32 v54, v21, v3
	v_fma_f16 v64, v21, v1, -v2
	ds_read2_b32 v[1:2], v105 offset0:136 offset1:244
	s_waitcnt lgkmcnt(1)
	v_lshrrev_b32_e32 v6, 16, v5
	v_mul_f16_sdwa v7, v18, v5 dst_sel:DWORD dst_unused:UNUSED_PAD src0_sel:WORD_1 src1_sel:DWORD
	v_mul_f16_sdwa v60, v18, v6 dst_sel:DWORD dst_unused:UNUSED_PAD src0_sel:WORD_1 src1_sel:DWORD
	v_fma_f16 v59, v18, v6, -v7
	ds_read2_b32 v[6:7], v131 offset0:112 offset1:220
	v_fmac_f16_e32 v60, v18, v5
	s_waitcnt lgkmcnt(0)
	v_lshrrev_b32_e32 v3, 16, v7
	v_mul_f16_sdwa v5, v23, v7 dst_sel:DWORD dst_unused:UNUSED_PAD src0_sel:WORD_1 src1_sel:DWORD
	v_lshrrev_b32_e32 v36, 16, v6
	v_mul_f16_sdwa v37, v19, v6 dst_sel:DWORD dst_unused:UNUSED_PAD src0_sel:WORD_1 src1_sel:DWORD
	v_mul_f16_sdwa v63, v23, v3 dst_sel:DWORD dst_unused:UNUSED_PAD src0_sel:WORD_1 src1_sel:DWORD
	v_fma_f16 v65, v23, v3, -v5
	v_lshrrev_b32_e32 v3, 16, v1
	v_mul_f16_sdwa v62, v19, v36 dst_sel:DWORD dst_unused:UNUSED_PAD src0_sel:WORD_1 src1_sel:DWORD
	v_mul_f16_sdwa v5, v20, v1 dst_sel:DWORD dst_unused:UNUSED_PAD src0_sel:WORD_1 src1_sel:DWORD
	v_fmac_f16_e32 v63, v23, v7
	v_fma_f16 v61, v19, v36, -v37
	v_mul_f16_sdwa v38, v20, v3 dst_sel:DWORD dst_unused:UNUSED_PAD src0_sel:WORD_1 src1_sel:DWORD
	v_fmac_f16_e32 v62, v19, v6
	v_fma_f16 v39, v20, v3, -v5
	ds_read2_b32 v[5:6], v214 offset0:64 offset1:172
	v_sub_f16_e32 v68, v57, v61
	v_fmac_f16_e32 v38, v20, v1
	v_lshrrev_b32_e32 v1, 16, v2
	v_sub_f16_e32 v69, v58, v62
	v_mul_f16_sdwa v18, v40, v1 dst_sel:DWORD dst_unused:UNUSED_PAD src0_sel:WORD_1 src1_sel:DWORD
	v_fmac_f16_e32 v18, v40, v2
	v_mul_f16_sdwa v2, v40, v2 dst_sel:DWORD dst_unused:UNUSED_PAD src0_sel:WORD_1 src1_sel:DWORD
	v_fma_f16 v20, v40, v1, -v2
	ds_read2_b32 v[1:2], v121 offset0:16 offset1:124
	s_waitcnt lgkmcnt(1)
	v_lshrrev_b32_e32 v3, 16, v5
	v_mul_f16_sdwa v7, v22, v5 dst_sel:DWORD dst_unused:UNUSED_PAD src0_sel:WORD_1 src1_sel:DWORD
	v_mul_f16_sdwa v67, v22, v3 dst_sel:DWORD dst_unused:UNUSED_PAD src0_sel:WORD_1 src1_sel:DWORD
	v_fma_f16 v66, v22, v3, -v7
	v_lshrrev_b32_e32 v3, 16, v6
	v_fmac_f16_e32 v67, v22, v5
	v_mul_f16_sdwa v5, v42, v6 dst_sel:DWORD dst_unused:UNUSED_PAD src0_sel:WORD_1 src1_sel:DWORD
	v_mul_f16_sdwa v36, v42, v3 dst_sel:DWORD dst_unused:UNUSED_PAD src0_sel:WORD_1 src1_sel:DWORD
	v_fma_f16 v37, v42, v3, -v5
	v_fmac_f16_e32 v36, v42, v6
	s_waitcnt lgkmcnt(0)
	v_lshrrev_b32_e32 v3, 16, v1
	v_mul_f16_sdwa v5, v41, v1 dst_sel:DWORD dst_unused:UNUSED_PAD src0_sel:WORD_1 src1_sel:DWORD
	v_mul_f16_sdwa v40, v41, v3 dst_sel:DWORD dst_unused:UNUSED_PAD src0_sel:WORD_1 src1_sel:DWORD
	v_fma_f16 v42, v41, v3, -v5
	ds_read2_b32 v[5:6], v122 offset0:72 offset1:180
	v_fmac_f16_e32 v40, v41, v1
	v_lshrrev_b32_e32 v1, 16, v2
	v_mul_f16_sdwa v19, v33, v1 dst_sel:DWORD dst_unused:UNUSED_PAD src0_sel:WORD_1 src1_sel:DWORD
	v_fmac_f16_e32 v19, v33, v2
	v_mul_f16_sdwa v2, v33, v2 dst_sel:DWORD dst_unused:UNUSED_PAD src0_sel:WORD_1 src1_sel:DWORD
	v_fma_f16 v23, v33, v1, -v2
	ds_read2_b32 v[1:2], v92 offset0:96 offset1:204
	s_waitcnt lgkmcnt(1)
	v_lshrrev_b32_e32 v3, 16, v5
	v_mul_f16_sdwa v7, v43, v5 dst_sel:DWORD dst_unused:UNUSED_PAD src0_sel:WORD_1 src1_sel:DWORD
	v_mul_f16_sdwa v55, v43, v3 dst_sel:DWORD dst_unused:UNUSED_PAD src0_sel:WORD_1 src1_sel:DWORD
	v_fma_f16 v56, v43, v3, -v7
	v_lshrrev_b32_e32 v3, 16, v6
	v_fmac_f16_e32 v55, v43, v5
	v_mul_f16_sdwa v5, v35, v6 dst_sel:DWORD dst_unused:UNUSED_PAD src0_sel:WORD_1 src1_sel:DWORD
	v_mul_f16_sdwa v21, v35, v3 dst_sel:DWORD dst_unused:UNUSED_PAD src0_sel:WORD_1 src1_sel:DWORD
	v_add_f16_e32 v43, v57, v61
	v_fma_f16 v33, v35, v3, -v5
	v_fmac_f16_e32 v21, v35, v6
	s_waitcnt lgkmcnt(0)
	v_lshrrev_b32_e32 v3, 16, v1
	v_mul_f16_sdwa v5, v32, v1 dst_sel:DWORD dst_unused:UNUSED_PAD src0_sel:WORD_1 src1_sel:DWORD
	v_mul_f16_sdwa v16, v32, v3 dst_sel:DWORD dst_unused:UNUSED_PAD src0_sel:WORD_1 src1_sel:DWORD
	v_fma_f16 v17, v32, v3, -v5
	ds_read2_b32 v[5:6], v213 offset0:24 offset1:132
	v_fmac_f16_e32 v16, v32, v1
	v_mul_f16_sdwa v32, v9, v4 dst_sel:DWORD dst_unused:UNUSED_PAD src0_sel:WORD_1 src1_sel:DWORD
	s_waitcnt lgkmcnt(0)
	v_lshrrev_b32_e32 v3, 16, v5
	v_mul_f16_sdwa v7, v34, v5 dst_sel:DWORD dst_unused:UNUSED_PAD src0_sel:WORD_1 src1_sel:DWORD
	v_mul_f16_sdwa v41, v10, v6 dst_sel:DWORD dst_unused:UNUSED_PAD src0_sel:WORD_1 src1_sel:DWORD
	;; [unrolled: 1-line block ×3, first 2 shown]
	v_fma_f16 v22, v34, v3, -v7
	v_lshrrev_b32_e32 v7, 16, v4
	v_fmac_f16_e32 v35, v34, v5
	v_lshrrev_b32_e32 v5, 16, v2
	v_mul_f16_sdwa v3, v9, v7 dst_sel:DWORD dst_unused:UNUSED_PAD src0_sel:WORD_1 src1_sel:DWORD
	v_lshrrev_b32_e32 v34, 16, v6
	v_mul_f16_sdwa v1, v8, v5 dst_sel:DWORD dst_unused:UNUSED_PAD src0_sel:WORD_1 src1_sel:DWORD
	v_fmac_f16_e32 v3, v9, v4
	v_mul_f16_sdwa v4, v10, v34 dst_sel:DWORD dst_unused:UNUSED_PAD src0_sel:WORD_1 src1_sel:DWORD
	v_fmac_f16_e32 v1, v8, v2
	v_mul_f16_sdwa v2, v8, v2 dst_sel:DWORD dst_unused:UNUSED_PAD src0_sel:WORD_1 src1_sel:DWORD
	v_fmac_f16_e32 v4, v10, v6
	v_fma_f16 v6, v9, v7, -v32
	v_fma_f16 v2, v8, v5, -v2
	;; [unrolled: 1-line block ×3, first 2 shown]
	ds_read2_b32 v[9:10], v116 offset0:32 offset1:140
	s_waitcnt lgkmcnt(0)
	v_lshrrev_b32_e32 v8, 16, v9
	v_mul_f16_sdwa v7, v11, v9 dst_sel:DWORD dst_unused:UNUSED_PAD src0_sel:WORD_1 src1_sel:DWORD
	v_fma_f16 v7, v11, v8, -v7
	v_mul_f16_sdwa v8, v11, v8 dst_sel:DWORD dst_unused:UNUSED_PAD src0_sel:WORD_1 src1_sel:DWORD
	v_fmac_f16_e32 v8, v11, v9
	v_lshrrev_b32_e32 v9, 16, v10
	v_mul_f16_sdwa v11, v186, v9 dst_sel:DWORD dst_unused:UNUSED_PAD src0_sel:WORD_1 src1_sel:DWORD
	v_fmac_f16_e32 v11, v186, v10
	v_mul_f16_sdwa v10, v186, v10 dst_sel:DWORD dst_unused:UNUSED_PAD src0_sel:WORD_1 src1_sel:DWORD
	v_sub_f16_e32 v70, v60, v11
	v_fma_f16 v32, v186, v9, -v10
	ds_read2_b32 v[9:10], v130 offset1:108
	v_sub_f16_e32 v71, v59, v32
	s_waitcnt lgkmcnt(0)
	v_lshrrev_b32_e32 v34, 16, v9
	v_add_f16_e32 v41, v34, v57
	v_fmac_f16_e32 v34, -0.5, v43
	v_add_f16_e32 v43, v9, v58
	v_add_f16_e32 v57, v58, v62
	;; [unrolled: 1-line block ×7, first 2 shown]
	v_fmac_f16_e32 v53, -0.5, v58
	v_add_f16_e32 v58, v52, v60
	v_fma_f16 v9, -0.5, v57, v9
	v_add_f16_e32 v32, v61, v32
	v_fmac_f16_e32 v52, -0.5, v62
	v_fmamk_f16 v76, v69, 0x3aee, v34
	v_add_f16_e32 v11, v58, v11
	v_fmamk_f16 v58, v70, 0x3aee, v53
	v_fmac_f16_e32 v53, 0xbaee, v70
	v_fmamk_f16 v75, v68, 0xbaee, v9
	v_fmac_f16_e32 v9, 0x3aee, v68
	v_add_f16_e32 v59, v41, v32
	v_mul_f16_e32 v72, 0xbaee, v58
	v_mul_f16_e32 v73, 0.5, v58
	v_fmamk_f16 v58, v71, 0xbaee, v52
	v_fmac_f16_e32 v52, 0x3aee, v71
	v_mul_f16_e32 v68, 0xbaee, v53
	v_mul_f16_e32 v53, -0.5, v53
	v_fmac_f16_e32 v34, 0xbaee, v69
	v_fmac_f16_e32 v72, 0.5, v58
	v_fmac_f16_e32 v73, 0x3aee, v58
	v_add_f16_e32 v58, v43, v11
	v_fmac_f16_e32 v68, -0.5, v52
	v_fmac_f16_e32 v53, 0x3aee, v52
	v_add_f16_e32 v57, v75, v72
	v_sub_f16_e32 v11, v43, v11
	v_pack_b32_f16 v74, v58, v59
	v_add_f16_e32 v58, v76, v73
	v_sub_f16_e32 v32, v41, v32
	v_add_f16_e32 v41, v9, v68
	v_add_f16_e32 v43, v34, v53
	v_sub_f16_e32 v9, v9, v68
	v_pack_b32_f16 v77, v57, v58
	ds_read2_b32 v[57:58], v93 offset0:120 offset1:228
	ds_read2_b32 v[59:60], v124 offset0:88 offset1:196
	;; [unrolled: 1-line block ×3, first 2 shown]
	v_pack_b32_f16 v11, v11, v32
	v_pack_b32_f16 v41, v41, v43
	s_waitcnt lgkmcnt(0)
	s_barrier
	buffer_gl0_inv
	v_sub_f16_e32 v32, v76, v73
	ds_write2_b32 v180, v41, v11 offset0:52 offset1:142
	v_sub_f16_e32 v11, v75, v72
	v_sub_f16_e32 v34, v34, v53
	v_add_f16_e32 v41, v10, v54
	v_add_f16_e32 v43, v64, v65
	v_sub_f16_e32 v52, v64, v65
	v_pack_b32_f16 v11, v11, v32
	v_pack_b32_f16 v9, v9, v34
	v_add_f16_e32 v32, v54, v63
	v_lshrrev_b32_e32 v34, 16, v10
	v_add_f16_e32 v41, v41, v63
	ds_write2_b32 v176, v74, v77 offset1:90
	ds_write2_b32 v181, v11, v9 offset0:104 offset1:194
	v_lshrrev_b32_e32 v9, 16, v57
	v_mul_f16_sdwa v11, v167, v57 dst_sel:DWORD dst_unused:UNUSED_PAD src0_sel:WORD_1 src1_sel:DWORD
	v_fmac_f16_e32 v10, -0.5, v32
	v_add_f16_e32 v32, v34, v64
	v_fmac_f16_e32 v34, -0.5, v43
	v_sub_f16_e32 v43, v54, v63
	v_fma_f16 v11, v167, v9, -v11
	v_mul_f16_sdwa v9, v167, v9 dst_sel:DWORD dst_unused:UNUSED_PAD src0_sel:WORD_1 src1_sel:DWORD
	v_add_f16_e32 v54, v39, v66
	v_add_f16_e32 v32, v32, v65
	;; [unrolled: 1-line block ×3, first 2 shown]
	v_fmac_f16_e32 v9, v167, v57
	v_fmac_f16_e32 v39, -0.5, v53
	v_add_f16_e32 v53, v38, v67
	v_add_f16_e32 v57, v67, v9
	v_sub_f16_e32 v63, v67, v9
	v_add_f16_e32 v9, v53, v9
	v_fmac_f16_e32 v38, -0.5, v57
	v_sub_f16_e32 v53, v66, v11
	v_add_f16_e32 v11, v54, v11
	v_fmamk_f16 v54, v63, 0x3aee, v39
	v_fmac_f16_e32 v39, 0xbaee, v63
	v_fmamk_f16 v66, v43, 0x3aee, v34
	v_fmamk_f16 v64, v53, 0xbaee, v38
	v_add_f16_e32 v65, v32, v11
	v_mul_f16_e32 v57, 0xbaee, v54
	v_mul_f16_e32 v54, 0.5, v54
	v_fmac_f16_e32 v34, 0xbaee, v43
	v_fmac_f16_e32 v38, 0x3aee, v53
	v_mul_f16_e32 v43, 0xbaee, v39
	v_fmac_f16_e32 v57, 0.5, v64
	v_fmac_f16_e32 v54, 0x3aee, v64
	v_add_f16_e32 v64, v41, v9
	v_mul_f16_e32 v39, -0.5, v39
	v_fmac_f16_e32 v43, -0.5, v38
	v_sub_f16_e32 v9, v41, v9
	v_sub_f16_e32 v11, v32, v11
	v_pack_b32_f16 v64, v64, v65
	v_fmamk_f16 v65, v52, 0xbaee, v10
	v_fmac_f16_e32 v10, 0x3aee, v52
	v_fmac_f16_e32 v39, 0x3aee, v38
	v_pack_b32_f16 v9, v9, v11
	v_sub_f16_e32 v11, v66, v54
	v_add_f16_e32 v67, v65, v57
	v_add_f16_e32 v32, v10, v43
	;; [unrolled: 1-line block ×4, first 2 shown]
	v_pack_b32_f16 v32, v32, v38
	v_sub_f16_e32 v38, v42, v56
	v_pack_b32_f16 v67, v67, v68
	ds_write2_b32 v178, v32, v9 offset0:52 offset1:142
	v_sub_f16_e32 v9, v10, v43
	v_sub_f16_e32 v10, v65, v57
	;; [unrolled: 1-line block ×3, first 2 shown]
	v_add_f16_e32 v34, v42, v56
	v_add_f16_e32 v39, v40, v55
	ds_write2_b32 v177, v64, v67 offset1:90
	v_pack_b32_f16 v10, v10, v11
	v_pack_b32_f16 v9, v9, v32
	v_mul_f16_sdwa v11, v170, v58 dst_sel:DWORD dst_unused:UNUSED_PAD src0_sel:WORD_1 src1_sel:DWORD
	v_fma_f16 v39, -0.5, v39, v59
	ds_write2_b32 v179, v10, v9 offset0:104 offset1:194
	v_lshrrev_b32_e32 v9, 16, v58
	v_mul_f16_sdwa v10, v170, v9 dst_sel:DWORD dst_unused:UNUSED_PAD src0_sel:WORD_1 src1_sel:DWORD
	v_fma_f16 v9, v170, v9, -v11
	v_lshrrev_b32_e32 v11, 16, v59
	v_fmac_f16_e32 v10, v170, v58
	v_add_f16_e32 v41, v37, v9
	v_add_f16_e32 v32, v11, v42
	;; [unrolled: 1-line block ×3, first 2 shown]
	v_fmac_f16_e32 v11, -0.5, v34
	v_add_f16_e32 v43, v36, v10
	v_fmac_f16_e32 v20, -0.5, v41
	v_add_f16_e32 v41, v18, v36
	v_sub_f16_e32 v36, v36, v10
	v_add_f16_e32 v34, v59, v40
	v_fmac_f16_e32 v18, -0.5, v43
	v_sub_f16_e32 v37, v37, v9
	v_add_f16_e32 v10, v41, v10
	v_fmamk_f16 v41, v36, 0x3aee, v20
	v_add_f16_e32 v32, v32, v56
	v_add_f16_e32 v34, v34, v55
	;; [unrolled: 1-line block ×3, first 2 shown]
	v_fmamk_f16 v43, v37, 0xbaee, v18
	v_mul_f16_e32 v42, 0xbaee, v41
	v_mul_f16_e32 v41, 0.5, v41
	v_fmac_f16_e32 v20, 0xbaee, v36
	v_sub_f16_e32 v40, v40, v55
	v_add_f16_e32 v52, v32, v9
	v_fmac_f16_e32 v42, 0.5, v43
	v_fmac_f16_e32 v41, 0x3aee, v43
	v_add_f16_e32 v43, v34, v10
	v_fmac_f16_e32 v18, 0x3aee, v37
	v_mul_f16_e32 v36, 0xbaee, v20
	v_mul_f16_e32 v20, -0.5, v20
	v_fmamk_f16 v53, v40, 0x3aee, v11
	v_pack_b32_f16 v43, v43, v52
	v_fmamk_f16 v52, v38, 0xbaee, v39
	v_fmac_f16_e32 v39, 0x3aee, v38
	v_fmac_f16_e32 v11, 0xbaee, v40
	v_fmac_f16_e32 v36, -0.5, v18
	v_fmac_f16_e32 v20, 0x3aee, v18
	v_sub_f16_e32 v10, v34, v10
	v_sub_f16_e32 v9, v32, v9
	v_add_f16_e32 v54, v52, v42
	v_add_f16_e32 v18, v39, v36
	;; [unrolled: 1-line block ×3, first 2 shown]
	v_sub_f16_e32 v11, v11, v20
	v_pack_b32_f16 v9, v10, v9
	v_sub_f16_e32 v10, v39, v36
	v_add_f16_e32 v20, v60, v19
	v_pack_b32_f16 v18, v18, v32
	v_add_f16_e32 v32, v23, v33
	v_add_f16_e32 v55, v53, v41
	v_pack_b32_f16 v10, v10, v11
	v_add_f16_e32 v11, v19, v21
	ds_write2_b32 v184, v18, v9 offset0:52 offset1:142
	v_sub_f16_e32 v9, v52, v42
	v_sub_f16_e32 v18, v53, v41
	v_add_f16_e32 v20, v20, v21
	v_sub_f16_e32 v19, v19, v21
	v_pack_b32_f16 v54, v54, v55
	v_pack_b32_f16 v9, v9, v18
	v_lshrrev_b32_e32 v18, 16, v60
	v_fmac_f16_e32 v60, -0.5, v11
	ds_write2_b32 v183, v43, v54 offset1:90
	ds_write2_b32 v185, v9, v10 offset0:104 offset1:194
	v_lshrrev_b32_e32 v9, 16, v61
	v_mul_f16_sdwa v10, v168, v61 dst_sel:DWORD dst_unused:UNUSED_PAD src0_sel:WORD_1 src1_sel:DWORD
	v_add_f16_e32 v11, v18, v23
	v_sub_f16_e32 v23, v23, v33
	v_fmac_f16_e32 v18, -0.5, v32
	v_add_f16_e32 v32, v17, v22
	v_fma_f16 v10, v168, v9, -v10
	v_mul_f16_sdwa v9, v168, v9 dst_sel:DWORD dst_unused:UNUSED_PAD src0_sel:WORD_1 src1_sel:DWORD
	v_add_f16_e32 v11, v11, v33
	v_fmamk_f16 v36, v19, 0x3aee, v18
	v_fmac_f16_e32 v18, 0xbaee, v19
	v_add_f16_e32 v21, v22, v10
	v_fmac_f16_e32 v9, v168, v61
	v_fmac_f16_e32 v17, -0.5, v21
	v_add_f16_e32 v21, v16, v35
	v_add_f16_e32 v33, v35, v9
	v_sub_f16_e32 v34, v35, v9
	v_add_f16_e32 v9, v21, v9
	v_fmac_f16_e32 v16, -0.5, v33
	v_sub_f16_e32 v21, v22, v10
	v_fmamk_f16 v22, v34, 0x3aee, v17
	v_add_f16_e32 v10, v32, v10
	v_fmac_f16_e32 v17, 0xbaee, v34
	v_fmamk_f16 v33, v21, 0xbaee, v16
	v_mul_f16_e32 v32, 0xbaee, v22
	v_mul_f16_e32 v22, 0.5, v22
	v_add_f16_e32 v35, v11, v10
	v_fmac_f16_e32 v16, 0x3aee, v21
	v_mul_f16_e32 v19, 0xbaee, v17
	v_fmac_f16_e32 v32, 0.5, v33
	v_fmac_f16_e32 v22, 0x3aee, v33
	v_add_f16_e32 v33, v20, v9
	v_mul_f16_e32 v17, -0.5, v17
	v_fmac_f16_e32 v19, -0.5, v16
	v_sub_f16_e32 v9, v20, v9
	v_sub_f16_e32 v10, v11, v10
	v_pack_b32_f16 v33, v33, v35
	v_fmamk_f16 v35, v23, 0xbaee, v60
	v_fmac_f16_e32 v60, 0x3aee, v23
	v_fmac_f16_e32 v17, 0x3aee, v16
	v_pack_b32_f16 v9, v9, v10
	v_add_f16_e32 v38, v36, v22
	v_sub_f16_e32 v10, v35, v32
	v_add_f16_e32 v11, v60, v19
	v_add_f16_e32 v16, v18, v17
	;; [unrolled: 1-line block ×3, first 2 shown]
	v_pack_b32_f16 v11, v11, v16
	v_sub_f16_e32 v16, v18, v17
	v_add_f16_e32 v17, v0, v3
	v_add_f16_e32 v18, v1, v4
	v_pack_b32_f16 v37, v37, v38
	ds_write2_b32 v174, v11, v9 offset0:52 offset1:142
	v_sub_f16_e32 v9, v60, v19
	v_sub_f16_e32 v11, v36, v22
	v_add_f16_e32 v19, v2, v5
	ds_write2_b32 v182, v33, v37 offset1:90
	v_pack_b32_f16 v9, v9, v16
	v_pack_b32_f16 v10, v10, v11
	v_mul_f16_sdwa v11, v142, v62 dst_sel:DWORD dst_unused:UNUSED_PAD src0_sel:WORD_1 src1_sel:DWORD
	v_lshrrev_b32_e32 v16, 16, v0
	ds_write2_b32 v175, v10, v9 offset0:104 offset1:194
	v_lshrrev_b32_e32 v9, 16, v62
	v_add_f16_e32 v20, v16, v6
	v_mul_f16_sdwa v10, v142, v9 dst_sel:DWORD dst_unused:UNUSED_PAD src0_sel:WORD_1 src1_sel:DWORD
	v_fma_f16 v9, v142, v9, -v11
	v_add_f16_e32 v11, v3, v8
	v_sub_f16_e32 v3, v3, v8
	v_add_f16_e32 v8, v17, v8
	v_fmac_f16_e32 v10, v142, v62
	v_fmac_f16_e32 v0, -0.5, v11
	v_add_f16_e32 v11, v4, v10
	v_sub_f16_e32 v4, v4, v10
	v_add_f16_e32 v10, v18, v10
	v_fmac_f16_e32 v1, -0.5, v11
	v_add_f16_e32 v11, v5, v9
	v_sub_f16_e32 v5, v5, v9
	v_add_f16_e32 v9, v19, v9
	;; [unrolled: 4-line block ×3, first 2 shown]
	v_fmamk_f16 v18, v5, 0xbaee, v1
	v_fmac_f16_e32 v1, 0x3aee, v5
	v_fmac_f16_e32 v16, -0.5, v11
	v_fmamk_f16 v11, v4, 0x3aee, v2
	v_fmac_f16_e32 v2, 0xbaee, v4
	v_add_f16_e32 v19, v7, v9
	v_sub_f16_e32 v4, v7, v9
	v_fmamk_f16 v20, v3, 0x3aee, v16
	v_mul_f16_e32 v17, 0xbaee, v11
	v_mul_f16_e32 v11, 0.5, v11
	v_fmac_f16_e32 v16, 0xbaee, v3
	v_mul_f16_e32 v3, 0xbaee, v2
	v_mul_f16_e32 v2, -0.5, v2
	v_fmac_f16_e32 v17, 0.5, v18
	v_fmac_f16_e32 v11, 0x3aee, v18
	v_add_f16_e32 v18, v8, v10
	v_fmac_f16_e32 v3, -0.5, v1
	v_fmac_f16_e32 v2, 0x3aee, v1
	v_sub_f16_e32 v1, v8, v10
	v_add_f16_e32 v22, v20, v11
	v_pack_b32_f16 v18, v18, v19
	v_fmamk_f16 v19, v6, 0xbaee, v0
	v_fmac_f16_e32 v0, 0x3aee, v6
	v_add_f16_e32 v6, v16, v2
	v_pack_b32_f16 v1, v1, v4
	v_sub_f16_e32 v2, v16, v2
	v_add_f16_e32 v21, v19, v17
	v_add_f16_e32 v5, v0, v3
	v_sub_f16_e32 v0, v0, v3
	v_sub_f16_e32 v3, v20, v11
	v_pack_b32_f16 v21, v21, v22
	v_pack_b32_f16 v5, v5, v6
	;; [unrolled: 1-line block ×3, first 2 shown]
	ds_write2_b32 v171, v18, v21 offset1:90
	ds_write2_b32 v172, v5, v1 offset0:52 offset1:142
	v_sub_f16_e32 v1, v19, v17
	v_pack_b32_f16 v1, v1, v3
	ds_write2_b32 v173, v1, v0 offset0:104 offset1:194
	s_waitcnt lgkmcnt(0)
	s_barrier
	buffer_gl0_inv
	ds_read2_b32 v[0:1], v103 offset0:48 offset1:156
	ds_read2_b32 v[7:8], v111 offset0:104 offset1:212
	;; [unrolled: 1-line block ×3, first 2 shown]
	s_waitcnt lgkmcnt(2)
	v_lshrrev_b32_e32 v2, 16, v1
	v_mul_f16_sdwa v3, v28, v1 dst_sel:DWORD dst_unused:UNUSED_PAD src0_sel:WORD_1 src1_sel:DWORD
	v_mul_f16_sdwa v32, v28, v2 dst_sel:DWORD dst_unused:UNUSED_PAD src0_sel:WORD_1 src1_sel:DWORD
	v_fma_f16 v33, v28, v2, -v3
	ds_read2_b32 v[2:3], v132 offset0:56 offset1:164
	v_fmac_f16_e32 v32, v28, v1
	s_waitcnt lgkmcnt(0)
	v_lshrrev_b32_e32 v4, 16, v2
	v_mul_f16_sdwa v5, v29, v2 dst_sel:DWORD dst_unused:UNUSED_PAD src0_sel:WORD_1 src1_sel:DWORD
	v_lshrrev_b32_e32 v1, 16, v3
	v_mul_f16_sdwa v38, v29, v4 dst_sel:DWORD dst_unused:UNUSED_PAD src0_sel:WORD_1 src1_sel:DWORD
	v_fma_f16 v37, v29, v4, -v5
	v_lshrrev_b32_e32 v4, 16, v8
	v_mul_f16_sdwa v5, v30, v8 dst_sel:DWORD dst_unused:UNUSED_PAD src0_sel:WORD_1 src1_sel:DWORD
	v_mul_f16_sdwa v28, v25, v1 dst_sel:DWORD dst_unused:UNUSED_PAD src0_sel:WORD_1 src1_sel:DWORD
	v_fmac_f16_e32 v38, v29, v2
	v_mul_f16_sdwa v2, v25, v3 dst_sel:DWORD dst_unused:UNUSED_PAD src0_sel:WORD_1 src1_sel:DWORD
	v_mul_f16_sdwa v36, v30, v4 dst_sel:DWORD dst_unused:UNUSED_PAD src0_sel:WORD_1 src1_sel:DWORD
	v_fma_f16 v35, v30, v4, -v5
	ds_read2_b32 v[4:5], v131 offset0:112 offset1:220
	v_fmac_f16_e32 v28, v25, v3
	v_fmac_f16_e32 v36, v30, v8
	s_waitcnt lgkmcnt(0)
	v_lshrrev_b32_e32 v6, 16, v4
	v_mul_f16_sdwa v9, v31, v4 dst_sel:DWORD dst_unused:UNUSED_PAD src0_sel:WORD_1 src1_sel:DWORD
	v_lshrrev_b32_e32 v3, 16, v5
	v_mul_f16_sdwa v40, v31, v6 dst_sel:DWORD dst_unused:UNUSED_PAD src0_sel:WORD_1 src1_sel:DWORD
	v_fma_f16 v39, v31, v6, -v9
	v_mul_f16_sdwa v29, v27, v3 dst_sel:DWORD dst_unused:UNUSED_PAD src0_sel:WORD_1 src1_sel:DWORD
	ds_read2_b32 v[9:10], v122 offset0:72 offset1:180
	v_fmac_f16_e32 v40, v31, v4
	v_fma_f16 v31, v25, v1, -v2
	ds_read2_b32 v[1:2], v105 offset0:136 offset1:244
	v_mul_f16_sdwa v4, v27, v5 dst_sel:DWORD dst_unused:UNUSED_PAD src0_sel:WORD_1 src1_sel:DWORD
	v_fmac_f16_e32 v29, v27, v5
	v_lshrrev_b32_e32 v25, 16, v23
	v_add_f16_e32 v65, v38, v40
	v_add_f16_e32 v67, v37, v39
	v_fma_f16 v34, v27, v3, -v4
	v_add_f16_e32 v59, v28, v29
	v_mul_f16_sdwa v41, v14, v25 dst_sel:DWORD dst_unused:UNUSED_PAD src0_sel:WORD_1 src1_sel:DWORD
	v_fmac_f16_e32 v41, v14, v23
	v_mul_f16_sdwa v23, v14, v23 dst_sel:DWORD dst_unused:UNUSED_PAD src0_sel:WORD_1 src1_sel:DWORD
	s_waitcnt lgkmcnt(1)
	v_mul_f16_sdwa v8, v47, v10 dst_sel:DWORD dst_unused:UNUSED_PAD src0_sel:WORD_1 src1_sel:DWORD
	v_fma_f16 v42, v14, v25, -v23
	s_waitcnt lgkmcnt(0)
	v_lshrrev_b32_e32 v3, 16, v1
	v_mul_f16_sdwa v4, v24, v1 dst_sel:DWORD dst_unused:UNUSED_PAD src0_sel:WORD_1 src1_sel:DWORD
	v_mul_f16_sdwa v27, v24, v3 dst_sel:DWORD dst_unused:UNUSED_PAD src0_sel:WORD_1 src1_sel:DWORD
	v_fma_f16 v30, v24, v3, -v4
	ds_read2_b32 v[3:4], v214 offset0:64 offset1:172
	v_fmac_f16_e32 v27, v24, v1
	v_lshrrev_b32_e32 v1, 16, v2
	s_waitcnt lgkmcnt(0)
	v_lshrrev_b32_e32 v5, 16, v3
	v_mul_f16_sdwa v6, v26, v3 dst_sel:DWORD dst_unused:UNUSED_PAD src0_sel:WORD_1 src1_sel:DWORD
	v_mul_f16_sdwa v52, v26, v5 dst_sel:DWORD dst_unused:UNUSED_PAD src0_sel:WORD_1 src1_sel:DWORD
	v_fma_f16 v43, v26, v5, -v6
	v_lshrrev_b32_e32 v5, 16, v4
	v_mul_f16_sdwa v6, v50, v4 dst_sel:DWORD dst_unused:UNUSED_PAD src0_sel:WORD_1 src1_sel:DWORD
	v_fmac_f16_e32 v52, v26, v3
	v_mul_f16_sdwa v3, v48, v1 dst_sel:DWORD dst_unused:UNUSED_PAD src0_sel:WORD_1 src1_sel:DWORD
	v_mul_f16_sdwa v24, v50, v5 dst_sel:DWORD dst_unused:UNUSED_PAD src0_sel:WORD_1 src1_sel:DWORD
	v_fma_f16 v26, v50, v5, -v6
	v_add_f16_e32 v64, v30, v43
	v_add_f16_e32 v63, v27, v52
	v_fmac_f16_e32 v3, v48, v2
	v_mul_f16_sdwa v2, v48, v2 dst_sel:DWORD dst_unused:UNUSED_PAD src0_sel:WORD_1 src1_sel:DWORD
	v_fmac_f16_e32 v24, v50, v4
	v_fma_f16 v4, v48, v1, -v2
	ds_read2_b32 v[1:2], v121 offset0:16 offset1:124
	s_waitcnt lgkmcnt(0)
	v_lshrrev_b32_e32 v5, 16, v1
	v_mul_f16_sdwa v6, v49, v1 dst_sel:DWORD dst_unused:UNUSED_PAD src0_sel:WORD_1 src1_sel:DWORD
	v_mul_f16_sdwa v20, v49, v5 dst_sel:DWORD dst_unused:UNUSED_PAD src0_sel:WORD_1 src1_sel:DWORD
	v_fma_f16 v21, v49, v5, -v6
	v_lshrrev_b32_e32 v5, 16, v9
	v_mul_f16_sdwa v6, v51, v9 dst_sel:DWORD dst_unused:UNUSED_PAD src0_sel:WORD_1 src1_sel:DWORD
	v_fmac_f16_e32 v20, v49, v1
	v_lshrrev_b32_e32 v1, 16, v2
	v_mul_f16_sdwa v19, v51, v5 dst_sel:DWORD dst_unused:UNUSED_PAD src0_sel:WORD_1 src1_sel:DWORD
	v_fma_f16 v18, v51, v5, -v6
	v_lshrrev_b32_e32 v5, 16, v10
	v_mul_f16_sdwa v6, v45, v1 dst_sel:DWORD dst_unused:UNUSED_PAD src0_sel:WORD_1 src1_sel:DWORD
	v_fmac_f16_e32 v19, v51, v9
	v_lshrrev_b32_e32 v51, 16, v0
	v_mul_f16_sdwa v9, v47, v5 dst_sel:DWORD dst_unused:UNUSED_PAD src0_sel:WORD_1 src1_sel:DWORD
	v_fma_f16 v17, v47, v5, -v8
	v_fmac_f16_e32 v6, v45, v2
	v_mul_f16_sdwa v2, v45, v2 dst_sel:DWORD dst_unused:UNUSED_PAD src0_sel:WORD_1 src1_sel:DWORD
	v_fmac_f16_e32 v9, v47, v10
	v_fma_f16 v16, v45, v1, -v2
	ds_read2_b32 v[1:2], v92 offset0:96 offset1:204
	s_waitcnt lgkmcnt(0)
	v_lshrrev_b32_e32 v5, 16, v1
	v_mul_f16_sdwa v8, v44, v1 dst_sel:DWORD dst_unused:UNUSED_PAD src0_sel:WORD_1 src1_sel:DWORD
	v_mul_f16_sdwa v10, v44, v5 dst_sel:DWORD dst_unused:UNUSED_PAD src0_sel:WORD_1 src1_sel:DWORD
	v_fma_f16 v11, v44, v5, -v8
	v_lshrrev_b32_e32 v5, 16, v22
	v_mul_f16_sdwa v8, v46, v22 dst_sel:DWORD dst_unused:UNUSED_PAD src0_sel:WORD_1 src1_sel:DWORD
	v_fmac_f16_e32 v10, v44, v1
	v_mul_f16_sdwa v47, v46, v5 dst_sel:DWORD dst_unused:UNUSED_PAD src0_sel:WORD_1 src1_sel:DWORD
	v_fma_f16 v45, v46, v5, -v8
	v_lshrrev_b32_e32 v8, 16, v2
	v_fmac_f16_e32 v47, v46, v22
	v_lshrrev_b32_e32 v22, 16, v7
	v_mul_f16_sdwa v1, v12, v8 dst_sel:DWORD dst_unused:UNUSED_PAD src0_sel:WORD_1 src1_sel:DWORD
	v_mul_f16_sdwa v5, v13, v22 dst_sel:DWORD dst_unused:UNUSED_PAD src0_sel:WORD_1 src1_sel:DWORD
	v_fmac_f16_e32 v1, v12, v2
	v_mul_f16_sdwa v2, v12, v2 dst_sel:DWORD dst_unused:UNUSED_PAD src0_sel:WORD_1 src1_sel:DWORD
	v_fmac_f16_e32 v5, v13, v7
	v_mul_f16_sdwa v7, v13, v7 dst_sel:DWORD dst_unused:UNUSED_PAD src0_sel:WORD_1 src1_sel:DWORD
	v_fma_f16 v2, v12, v8, -v2
	v_add_f16_e32 v55, v1, v41
	v_add_f16_e32 v53, v0, v5
	v_fma_f16 v8, v13, v22, -v7
	ds_read2_b32 v[13:14], v116 offset0:32 offset1:140
	v_add_f16_e32 v56, v2, v42
	s_waitcnt lgkmcnt(0)
	v_lshrrev_b32_e32 v12, 16, v13
	v_mul_f16_sdwa v7, v15, v13 dst_sel:DWORD dst_unused:UNUSED_PAD src0_sel:WORD_1 src1_sel:DWORD
	v_fma_f16 v7, v15, v12, -v7
	v_mul_f16_sdwa v12, v15, v12 dst_sel:DWORD dst_unused:UNUSED_PAD src0_sel:WORD_1 src1_sel:DWORD
	v_fmac_f16_e32 v12, v15, v13
	v_lshrrev_b32_e32 v13, 16, v14
	v_mul_f16_sdwa v44, v187, v13 dst_sel:DWORD dst_unused:UNUSED_PAD src0_sel:WORD_1 src1_sel:DWORD
	v_fmac_f16_e32 v44, v187, v14
	v_mul_f16_sdwa v14, v187, v14 dst_sel:DWORD dst_unused:UNUSED_PAD src0_sel:WORD_1 src1_sel:DWORD
	v_fma_f16 v46, v187, v13, -v14
	ds_read2_b32 v[13:14], v93 offset0:120 offset1:228
	s_waitcnt lgkmcnt(0)
	v_lshrrev_b32_e32 v15, 16, v13
	v_mul_f16_sdwa v22, v188, v13 dst_sel:DWORD dst_unused:UNUSED_PAD src0_sel:WORD_1 src1_sel:DWORD
	v_mul_f16_sdwa v49, v188, v15 dst_sel:DWORD dst_unused:UNUSED_PAD src0_sel:WORD_1 src1_sel:DWORD
	v_fma_f16 v48, v188, v15, -v22
	v_fmac_f16_e32 v49, v188, v13
	v_lshrrev_b32_e32 v13, 16, v14
	v_mul_f16_sdwa v23, v190, v13 dst_sel:DWORD dst_unused:UNUSED_PAD src0_sel:WORD_1 src1_sel:DWORD
	v_fmac_f16_e32 v23, v190, v14
	v_mul_f16_sdwa v14, v190, v14 dst_sel:DWORD dst_unused:UNUSED_PAD src0_sel:WORD_1 src1_sel:DWORD
	v_fma_f16 v25, v190, v13, -v14
	ds_read2_b32 v[13:14], v91 offset0:80 offset1:188
	s_waitcnt lgkmcnt(0)
	v_lshrrev_b32_e32 v22, 16, v13
	v_mul_f16_sdwa v15, v191, v13 dst_sel:DWORD dst_unused:UNUSED_PAD src0_sel:WORD_1 src1_sel:DWORD
	v_lshrrev_b32_e32 v50, 16, v14
	v_fma_f16 v15, v191, v22, -v15
	v_mul_f16_sdwa v22, v191, v22 dst_sel:DWORD dst_unused:UNUSED_PAD src0_sel:WORD_1 src1_sel:DWORD
	v_fmac_f16_e32 v22, v191, v13
	v_mul_f16_sdwa v13, v169, v50 dst_sel:DWORD dst_unused:UNUSED_PAD src0_sel:WORD_1 src1_sel:DWORD
	v_fmac_f16_e32 v13, v169, v14
	v_mul_f16_sdwa v14, v169, v14 dst_sel:DWORD dst_unused:UNUSED_PAD src0_sel:WORD_1 src1_sel:DWORD
	v_fma_f16 v14, v169, v50, -v14
	v_add_f16_e32 v50, v5, v12
	v_fmac_f16_e32 v0, -0.5, v50
	v_sub_f16_e32 v50, v8, v7
	v_fmamk_f16 v54, v50, 0xbaee, v0
	v_fmac_f16_e32 v0, 0x3aee, v50
	v_add_f16_e32 v50, v41, v13
	v_sub_f16_e32 v41, v41, v13
	v_fmac_f16_e32 v1, -0.5, v50
	v_add_f16_e32 v50, v42, v14
	v_fmac_f16_e32 v2, -0.5, v50
	v_fmamk_f16 v50, v41, 0x3aee, v2
	v_fmac_f16_e32 v2, 0xbaee, v41
	v_sub_f16_e32 v41, v42, v14
	v_fmamk_f16 v57, v41, 0xbaee, v1
	v_fmac_f16_e32 v1, 0x3aee, v41
	v_mul_f16_e32 v41, 0xbaee, v2
	v_mul_f16_e32 v2, -0.5, v2
	v_fmac_f16_e32 v41, -0.5, v1
	v_fmac_f16_e32 v2, 0x3aee, v1
	v_add_f16_e32 v58, v0, v41
	v_sub_f16_e32 v0, v0, v41
	ds_read2_b32 v[41:42], v130 offset1:108
	s_waitcnt lgkmcnt(0)
	v_lshrrev_b32_e32 v60, 16, v42
	v_add_f16_e32 v61, v42, v28
	v_fmac_f16_e32 v42, -0.5, v59
	v_sub_f16_e32 v59, v31, v34
	v_fma_f16 v65, -0.5, v65, v41
	v_sub_f16_e32 v28, v28, v29
	v_fmamk_f16 v62, v59, 0xbaee, v42
	v_fmac_f16_e32 v42, 0x3aee, v59
	v_add_f16_e32 v59, v52, v49
	v_sub_f16_e32 v52, v52, v49
	v_fmac_f16_e32 v27, -0.5, v59
	v_add_f16_e32 v59, v43, v48
	v_sub_f16_e32 v43, v43, v48
	v_fmac_f16_e32 v30, -0.5, v59
	v_fmamk_f16 v59, v52, 0x3aee, v30
	v_fmac_f16_e32 v30, 0xbaee, v52
	v_fmamk_f16 v52, v43, 0xbaee, v27
	v_fmac_f16_e32 v27, 0x3aee, v43
	v_mul_f16_e32 v43, 0xbaee, v30
	v_mul_f16_e32 v30, -0.5, v30
	v_fmac_f16_e32 v43, -0.5, v27
	v_fmac_f16_e32 v30, 0x3aee, v27
	v_add_f16_e32 v66, v42, v43
	v_sub_f16_e32 v42, v42, v43
	v_lshrrev_b32_e32 v43, 16, v41
	v_add_f16_e32 v41, v41, v38
	v_sub_f16_e32 v38, v38, v40
	v_add_f16_e32 v68, v43, v37
	v_fmac_f16_e32 v43, -0.5, v67
	v_sub_f16_e32 v37, v37, v39
	v_add_f16_e32 v41, v41, v40
	v_add_f16_e32 v67, v32, v36
	v_fmamk_f16 v40, v37, 0xbaee, v65
	v_fmac_f16_e32 v65, 0x3aee, v37
	v_add_f16_e32 v37, v68, v39
	v_fmamk_f16 v39, v38, 0x3aee, v43
	v_fmac_f16_e32 v43, 0xbaee, v38
	v_add_f16_e32 v38, v36, v44
	v_add_f16_e32 v68, v33, v35
	v_sub_f16_e32 v36, v36, v44
	v_fmac_f16_e32 v32, -0.5, v38
	v_add_f16_e32 v38, v35, v46
	v_sub_f16_e32 v35, v35, v46
	v_fmac_f16_e32 v33, -0.5, v38
	v_add_f16_e32 v38, v67, v44
	v_fmamk_f16 v44, v35, 0xbaee, v32
	v_fmac_f16_e32 v32, 0x3aee, v35
	v_add_f16_e32 v35, v68, v46
	v_fmamk_f16 v46, v36, 0x3aee, v33
	v_fmac_f16_e32 v33, 0xbaee, v36
	v_mul_f16_e32 v36, 0xbaee, v46
	v_mul_f16_e32 v46, 0.5, v46
	v_fmac_f16_e32 v36, 0.5, v44
	v_fmac_f16_e32 v46, 0x3aee, v44
	v_mul_f16_e32 v44, 0xbaee, v33
	v_mul_f16_e32 v33, -0.5, v33
	v_fmac_f16_e32 v44, -0.5, v32
	v_fmac_f16_e32 v33, 0x3aee, v32
	v_add_f16_e32 v32, v41, v38
	v_sub_f16_e32 v38, v41, v38
	v_add_f16_e32 v41, v40, v36
	v_sub_f16_e32 v36, v40, v36
	;; [unrolled: 2-line block ×6, first 2 shown]
	v_add_f16_e32 v43, v64, v48
	v_pack_b32_f16 v37, v41, v37
	v_add_f16_e32 v41, v63, v49
	v_pack_b32_f16 v40, v40, v46
	v_pack_b32_f16 v46, v32, v65
	v_add_f16_e32 v32, v60, v31
	v_pack_b32_f16 v35, v38, v35
	v_pack_b32_f16 v36, v36, v39
	v_add_f16_e32 v38, v61, v29
	ds_write_b32 v130, v37 offset:2160
	ds_write_b32 v130, v40 offset:4320
	v_add_f16_e32 v39, v32, v34
	v_pack_b32_f16 v37, v44, v33
	v_add_f16_e32 v31, v31, v34
	v_add_f16_e32 v32, v38, v41
	;; [unrolled: 1-line block ×5, first 2 shown]
	v_fmac_f16_e32 v60, -0.5, v31
	v_mul_f16_e32 v31, 0.5, v59
	v_add_f16_e32 v61, v4, v26
	v_pack_b32_f16 v40, v32, v33
	ds_read2_b32 v[32:33], v124 offset0:88 offset1:196
	v_fmamk_f16 v29, v28, 0x3aee, v60
	v_fmac_f16_e32 v31, 0x3aee, v52
	ds_write_b32 v130, v35 offset:6480
	ds_write_b32 v130, v36 offset:8640
	;; [unrolled: 1-line block ×3, first 2 shown]
	ds_write2_b32 v130, v46, v40 offset1:108
	v_add_f16_e32 v40, v10, v47
	v_fmac_f16_e32 v60, 0xbaee, v28
	v_mul_f16_e32 v28, 0xbaee, v59
	v_add_f16_e32 v34, v29, v31
	v_sub_f16_e32 v29, v29, v31
	v_add_f16_e32 v31, v6, v9
	v_add_f16_e32 v59, v3, v24
	v_fmac_f16_e32 v28, 0.5, v52
	v_add_f16_e32 v27, v62, v28
	v_sub_f16_e32 v28, v62, v28
	s_waitcnt lgkmcnt(4)
	v_lshrrev_b32_e32 v35, 16, v33
	v_add_f16_e32 v36, v33, v6
	v_fmac_f16_e32 v33, -0.5, v31
	v_sub_f16_e32 v31, v16, v17
	v_pack_b32_f16 v27, v27, v34
	v_pack_b32_f16 v28, v28, v29
	v_fmamk_f16 v37, v31, 0xbaee, v33
	v_fmac_f16_e32 v33, 0x3aee, v31
	v_add_f16_e32 v31, v47, v22
	v_fmac_f16_e32 v10, -0.5, v31
	v_add_f16_e32 v31, v45, v15
	v_fmac_f16_e32 v11, -0.5, v31
	v_sub_f16_e32 v31, v47, v22
	v_add_f16_e32 v47, v20, v19
	v_fmamk_f16 v46, v31, 0x3aee, v11
	v_fmac_f16_e32 v11, 0xbaee, v31
	v_sub_f16_e32 v31, v45, v15
	v_fma_f16 v47, -0.5, v47, v32
	v_add_f16_e32 v15, v44, v15
	v_fmamk_f16 v45, v31, 0xbaee, v10
	v_fmac_f16_e32 v10, 0x3aee, v31
	v_mul_f16_e32 v31, 0xbaee, v11
	v_fmac_f16_e32 v31, -0.5, v10
	v_add_f16_e32 v48, v33, v31
	v_sub_f16_e32 v31, v33, v31
	v_lshrrev_b32_e32 v33, 16, v32
	v_add_f16_e32 v32, v32, v20
	v_sub_f16_e32 v20, v20, v19
	v_add_f16_e32 v52, v33, v21
	v_fmac_f16_e32 v33, -0.5, v49
	v_add_f16_e32 v49, v24, v23
	v_sub_f16_e32 v24, v24, v23
	v_sub_f16_e32 v21, v21, v18
	v_add_f16_e32 v19, v32, v19
	v_fmamk_f16 v34, v20, 0x3aee, v33
	v_fmac_f16_e32 v3, -0.5, v49
	v_add_f16_e32 v49, v26, v25
	v_sub_f16_e32 v26, v26, v25
	v_fmac_f16_e32 v33, 0xbaee, v20
	v_fmamk_f16 v29, v21, 0xbaee, v47
	v_fmac_f16_e32 v47, 0x3aee, v21
	v_fmac_f16_e32 v4, -0.5, v49
	v_fmamk_f16 v63, v26, 0xbaee, v3
	v_fmac_f16_e32 v3, 0x3aee, v26
	v_add_f16_e32 v18, v52, v18
	v_add_f16_e32 v23, v59, v23
	v_fmamk_f16 v49, v24, 0x3aee, v4
	v_fmac_f16_e32 v4, 0xbaee, v24
	v_sub_f16_e32 v24, v60, v30
	v_add_f16_e32 v25, v61, v25
	v_mul_f16_e32 v62, 0xbaee, v49
	v_mul_f16_e32 v20, 0xbaee, v4
	v_mul_f16_e32 v4, -0.5, v4
	v_mul_f16_e32 v49, 0.5, v49
	v_sub_f16_e32 v32, v18, v25
	v_fmac_f16_e32 v62, 0.5, v63
	v_fmac_f16_e32 v20, -0.5, v3
	v_fmac_f16_e32 v4, 0x3aee, v3
	v_fmac_f16_e32 v49, 0x3aee, v63
	v_add_f16_e32 v63, v60, v30
	v_pack_b32_f16 v3, v42, v24
	v_sub_f16_e32 v21, v47, v20
	v_sub_f16_e32 v24, v33, v4
	v_add_f16_e32 v64, v29, v62
	v_add_f16_e32 v65, v34, v49
	v_pack_b32_f16 v63, v66, v63
	v_add_f16_e32 v18, v18, v25
	v_pack_b32_f16 v21, v21, v24
	;; [unrolled: 2-line block ×3, first 2 shown]
	ds_write_b32 v130, v63 offset:4752
	ds_write_b32 v130, v28 offset:9072
	ds_write2_b32 v105, v27, v64 offset0:136 offset1:244
	v_sub_f16_e32 v27, v38, v41
	v_sub_f16_e32 v28, v39, v43
	ds_write2_b32 v93, v3, v21 offset0:120 offset1:228
	v_add_f16_e32 v3, v19, v23
	v_add_f16_e32 v21, v35, v16
	v_pack_b32_f16 v27, v27, v28
	v_sub_f16_e32 v28, v19, v23
	v_add_f16_e32 v19, v40, v22
	v_pack_b32_f16 v3, v3, v18
	v_add_f16_e32 v18, v36, v9
	v_add_f16_e32 v21, v21, v17
	v_pack_b32_f16 v28, v28, v32
	v_add_f16_e32 v22, v18, v19
	v_add_f16_e32 v23, v21, v15
	ds_write2_b32 v214, v27, v28 offset0:64 offset1:172
	v_pack_b32_f16 v22, v22, v23
	ds_write2_b32 v124, v3, v22 offset0:88 offset1:196
	v_add_f16_e32 v3, v16, v17
	v_mul_f16_e32 v16, 0.5, v46
	v_fmac_f16_e32 v35, -0.5, v3
	v_sub_f16_e32 v3, v6, v9
	v_add_f16_e32 v6, v47, v20
	v_fmac_f16_e32 v16, 0x3aee, v45
	v_fmamk_f16 v9, v3, 0x3aee, v35
	v_fmac_f16_e32 v35, 0xbaee, v3
	v_mul_f16_e32 v3, -0.5, v11
	v_pack_b32_f16 v4, v6, v4
	v_sub_f16_e32 v11, v21, v15
	v_mul_f16_e32 v15, 0xbaee, v46
	v_fmac_f16_e32 v3, 0x3aee, v10
	v_sub_f16_e32 v10, v18, v19
	v_fmac_f16_e32 v15, 0.5, v45
	v_add_f16_e32 v6, v35, v3
	v_sub_f16_e32 v3, v35, v3
	v_pack_b32_f16 v6, v48, v6
	v_pack_b32_f16 v3, v31, v3
	ds_write2_b32 v121, v4, v6 offset0:16 offset1:124
	v_sub_f16_e32 v4, v29, v62
	v_sub_f16_e32 v6, v34, v49
	v_pack_b32_f16 v4, v4, v6
	v_pack_b32_f16 v6, v10, v11
	v_sub_f16_e32 v10, v37, v15
	v_sub_f16_e32 v11, v9, v16
	v_add_f16_e32 v9, v9, v16
	v_pack_b32_f16 v10, v10, v11
	ds_write_b32 v130, v6 offset:7776
	ds_write2_b32 v122, v4, v10 offset0:72 offset1:180
	v_add_f16_e32 v4, v8, v7
	v_add_f16_e32 v6, v37, v15
	;; [unrolled: 1-line block ×3, first 2 shown]
	v_mul_f16_e32 v10, 0xbaee, v50
	v_mul_f16_e32 v11, 0.5, v50
	v_fmac_f16_e32 v51, -0.5, v4
	v_sub_f16_e32 v4, v5, v12
	v_add_f16_e32 v5, v53, v12
	v_add_f16_e32 v7, v8, v7
	;; [unrolled: 1-line block ×4, first 2 shown]
	v_fmac_f16_e32 v10, 0.5, v57
	v_fmac_f16_e32 v11, 0x3aee, v57
	v_pack_b32_f16 v6, v6, v9
	v_fmamk_f16 v9, v4, 0x3aee, v51
	v_fmac_f16_e32 v51, 0xbaee, v4
	v_add_f16_e32 v13, v5, v8
	v_add_f16_e32 v14, v7, v12
	v_add_f16_e32 v15, v54, v10
	v_add_f16_e32 v16, v9, v11
	ds_write_b32 v130, v3 offset:12096
	v_sub_f16_e32 v3, v5, v8
	v_add_f16_e32 v5, v51, v2
	v_sub_f16_e32 v7, v7, v12
	v_sub_f16_e32 v4, v54, v10
	;; [unrolled: 1-line block ×4, first 2 shown]
	v_pack_b32_f16 v13, v13, v14
	v_pack_b32_f16 v1, v15, v16
	;; [unrolled: 1-line block ×6, first 2 shown]
	ds_write_b32 v130, v13 offset:1728
	ds_write2_b32 v92, v6, v1 offset0:96 offset1:204
	ds_write_b32 v130, v5 offset:6048
	ds_write_b32 v130, v3 offset:8208
	;; [unrolled: 1-line block ×4, first 2 shown]
	s_waitcnt lgkmcnt(0)
	s_barrier
	buffer_gl0_inv
	ds_read2_b32 v[2:3], v130 offset1:108
	ds_read2_b32 v[4:5], v132 offset0:56 offset1:164
	s_clause 0x1
	buffer_load_dword v14, off, s[20:23], 0 offset:16
	buffer_load_dword v15, off, s[20:23], 0 offset:20
	v_mad_u64_u32 v[10:11], null, s8, v125, 0
	s_waitcnt lgkmcnt(1)
	v_lshrrev_b32_e32 v16, 16, v2
	s_waitcnt lgkmcnt(0)
	v_lshrrev_b32_e32 v20, 16, v4
	v_mul_f16_sdwa v17, v126, v2 dst_sel:DWORD dst_unused:UNUSED_PAD src0_sel:WORD_1 src1_sel:DWORD
	v_lshrrev_b32_e32 v23, 16, v3
	v_mul_f16_sdwa v0, v126, v16 dst_sel:DWORD dst_unused:UNUSED_PAD src0_sel:WORD_1 src1_sel:DWORD
	v_mul_f16_sdwa v1, v128, v20 dst_sel:DWORD dst_unused:UNUSED_PAD src0_sel:WORD_1 src1_sel:DWORD
	v_fmac_f16_e32 v0, v126, v2
	v_fmac_f16_e32 v1, v128, v4
	v_mul_f16_sdwa v4, v128, v4 dst_sel:DWORD dst_unused:UNUSED_PAD src0_sel:WORD_1 src1_sel:DWORD
	v_cvt_f32_f16_e32 v0, v0
	v_cvt_f32_f16_e32 v1, v1
	v_cvt_f64_f32_e32 v[8:9], v0
	v_cvt_f64_f32_e32 v[12:13], v1
	ds_read2_b32 v[1:2], v131 offset0:112 offset1:220
	s_waitcnt vmcnt(1)
	v_mad_u64_u32 v[6:7], null, s10, v14, 0
	v_mov_b32_e32 v0, v7
	v_mov_b32_e32 v7, v11
	s_waitcnt vmcnt(0) lgkmcnt(0)
	v_mad_u64_u32 v[14:15], null, s11, v14, v[0:1]
	v_fma_f16 v0, v126, v16, -v17
	v_mad_u64_u32 v[15:16], null, s9, v125, v[7:8]
	v_mul_f64 v[16:17], v[8:9], s[6:7]
	v_cvt_f32_f16_e32 v0, v0
	v_mov_b32_e32 v7, v14
	v_mov_b32_e32 v11, v15
	v_cvt_f64_f32_e32 v[14:15], v0
	v_fma_f16 v0, v128, v20, -v4
	v_lshlrev_b64 v[18:19], 2, v[6:7]
	v_lshrrev_b32_e32 v4, 16, v1
	v_mul_f64 v[7:8], v[12:13], s[6:7]
	v_lshlrev_b64 v[9:10], 2, v[10:11]
	v_cvt_f32_f16_e32 v0, v0
	v_mul_f16_sdwa v6, v129, v4 dst_sel:DWORD dst_unused:UNUSED_PAD src0_sel:WORD_1 src1_sel:DWORD
	v_add_co_u32 v11, vcc_lo, s0, v18
	v_add_co_ci_u32_e32 v12, vcc_lo, s1, v19, vcc_lo
	v_cvt_f64_f32_e32 v[18:19], v0
	v_fmac_f16_e32 v6, v129, v1
	v_and_or_b32 v13, 0x1ff, v17, v16
	v_add_co_u32 v11, vcc_lo, v11, v9
	v_add_co_ci_u32_e32 v12, vcc_lo, v12, v10, vcc_lo
	v_cvt_f32_f16_e32 v0, v6
	v_mul_f16_sdwa v6, v129, v1 dst_sel:DWORD dst_unused:UNUSED_PAD src0_sel:WORD_1 src1_sel:DWORD
	v_cmp_ne_u32_e32 vcc_lo, 0, v13
	v_mul_f64 v[13:14], v[14:15], s[6:7]
	v_bfe_u32 v21, v17, 20, 11
	v_cvt_f64_f32_e32 v[0:1], v0
	v_fma_f16 v4, v129, v4, -v6
	v_and_or_b32 v7, 0x1ff, v8, v7
	v_cndmask_b32_e64 v20, 0, 1, vcc_lo
	v_sub_nc_u32_e32 v6, 0x3f1, v21
	v_bfe_u32 v25, v8, 20, 11
	v_cvt_f32_f16_e32 v4, v4
	v_cmp_ne_u32_e32 vcc_lo, 0, v7
	v_lshrrev_b32_e32 v22, 8, v17
	v_lshrrev_b32_e32 v24, 8, v8
	v_mul_f64 v[15:16], v[18:19], s[6:7]
	v_mul_f16_sdwa v18, v127, v23 dst_sel:DWORD dst_unused:UNUSED_PAD src0_sel:WORD_1 src1_sel:DWORD
	v_cvt_f64_f32_e32 v[9:10], v4
	v_cndmask_b32_e64 v7, 0, 1, vcc_lo
	v_med3_i32 v19, v6, 0, 13
	v_sub_nc_u32_e32 v6, 0x3f1, v25
	v_fmac_f16_e32 v18, v127, v3
	v_and_or_b32 v4, 0xffe, v22, v20
	v_and_or_b32 v20, 0xffe, v24, v7
	v_add_nc_u32_e32 v21, 0xfffffc10, v21
	v_med3_i32 v24, v6, 0, 13
	v_cvt_f32_f16_e32 v18, v18
	v_mul_f64 v[6:7], v[0:1], s[6:7]
	v_and_or_b32 v13, 0x1ff, v14, v13
	v_or_b32_e32 v26, 0x1000, v20
	v_or_b32_e32 v22, 0x1000, v4
	v_cvt_f64_f32_e32 v[0:1], v18
	v_lshrrev_b32_e32 v18, 8, v14
	v_cmp_ne_u32_e32 vcc_lo, 0, v13
	v_lshrrev_b32_e32 v27, v24, v26
	v_bfe_u32 v29, v14, 20, 11
	v_lshrrev_b32_e32 v28, v19, v22
	v_and_or_b32 v15, 0x1ff, v16, v15
	v_cndmask_b32_e64 v13, 0, 1, vcc_lo
	v_mul_f64 v[9:10], v[9:10], s[6:7]
	v_lshlrev_b32_e32 v24, v24, v27
	v_lshlrev_b32_e32 v19, v19, v28
	v_cmp_ne_u32_e64 s0, 0, v15
	v_and_or_b32 v18, 0xffe, v18, v13
	v_sub_nc_u32_e32 v13, 0x3f1, v29
	v_cmp_ne_u32_e32 vcc_lo, v24, v26
	v_lshrrev_b32_e32 v24, 8, v16
	v_cndmask_b32_e64 v15, 0, 1, s0
	v_or_b32_e32 v26, 0x1000, v18
	v_and_or_b32 v6, 0x1ff, v7, v6
	v_med3_i32 v13, v13, 0, 13
	v_lshrrev_b32_e32 v30, 8, v7
	v_and_or_b32 v15, 0xffe, v24, v15
	v_mul_f64 v[0:1], v[0:1], s[6:7]
	v_cmp_ne_u32_e64 s0, 0, v6
	v_lshrrev_b32_e32 v24, v13, v26
	v_add_nc_u32_e32 v29, 0xfffffc10, v29
	v_cmp_gt_i32_e64 s2, 31, v21
	v_mul_f16_sdwa v3, v127, v3 dst_sel:DWORD dst_unused:UNUSED_PAD src0_sel:WORD_1 src1_sel:DWORD
	v_cndmask_b32_e64 v6, 0, 1, s0
	v_cmp_ne_u32_e64 s0, v19, v22
	v_and_or_b32 v22, 0x1ff, v10, v9
	v_lshlrev_b32_e32 v13, v13, v24
	v_fma_f16 v3, v127, v23, -v3
	v_and_or_b32 v9, 0xffe, v30, v6
	v_cndmask_b32_e64 v6, 0, 1, s0
	v_cmp_ne_u32_e64 s0, 0, v22
	v_bfe_u32 v23, v16, 20, 11
	v_add_nc_u32_e32 v25, 0xfffffc10, v25
	v_cvt_f32_f16_e32 v3, v3
	v_or_b32_e32 v6, v28, v6
	v_cndmask_b32_e64 v22, 0, 1, s0
	v_cmp_ne_u32_e64 s0, v13, v26
	v_lshl_or_b32 v28, v21, 12, v4
	v_lshrrev_b32_e32 v13, 8, v10
	v_and_or_b32 v0, 0x1ff, v1, v0
	v_sub_nc_u32_e32 v19, 0x3f1, v23
	v_cndmask_b32_e64 v26, 0, 1, s0
	v_cmp_gt_i32_e64 s0, 1, v21
	v_and_or_b32 v13, 0xffe, v13, v22
	v_add_nc_u32_e32 v23, 0xfffffc10, v23
	v_med3_i32 v19, v19, 0, 13
	v_or_b32_e32 v22, v24, v26
	v_cndmask_b32_e64 v6, v28, v6, s0
	v_cmp_ne_u32_e64 s0, 0, v0
	v_lshl_or_b32 v24, v29, 12, v18
	v_lshrrev_b32_e32 v14, 16, v14
	v_bfe_u32 v31, v1, 20, 11
	v_and_b32_e32 v26, 7, v6
	v_cndmask_b32_e64 v0, 0, 1, s0
	v_cmp_gt_i32_e64 s0, 1, v29
	v_lshrrev_b32_e32 v6, 2, v6
	v_lshrrev_b32_e32 v8, 16, v8
	v_cmp_eq_u32_e64 s1, 3, v26
	v_or_b32_e32 v33, 0x1000, v13
	v_cndmask_b32_e64 v22, v24, v22, s0
	v_cmp_lt_i32_e64 s0, 5, v26
	v_lshrrev_b32_e32 v24, 8, v1
	v_or_b32_e32 v26, 0x1000, v15
	s_or_b32 s0, s1, s0
	v_and_or_b32 v0, 0xffe, v24, v0
	v_add_co_ci_u32_e64 v6, s0, 0, v6, s0
	v_cmp_ne_u32_e64 s0, 0, v4
	v_and_b32_e32 v24, 7, v22
	v_or_b32_e32 v34, 0x1000, v0
	v_cndmask_b32_e64 v6, 0x7c00, v6, s2
	v_cmp_eq_u32_e64 s2, 0x40f, v21
	v_cndmask_b32_e64 v4, 0, 1, s0
	v_cmp_lt_i32_e64 s0, 5, v24
	v_cmp_eq_u32_e64 s1, 3, v24
	v_bfe_u32 v24, v7, 20, 11
	v_lshrrev_b32_e32 v21, v19, v26
	v_lshl_or_b32 v4, v4, 9, 0x7c00
	v_lshrrev_b32_e32 v7, 16, v7
	v_lshlrev_b32_e32 v19, v19, v21
	v_cndmask_b32_e64 v4, v6, v4, s2
	v_sub_nc_u32_e32 v6, 0x3f1, v24
	s_mul_hi_u32 s2, s8, 0x10e0
	v_med3_i32 v28, v6, 0, 13
	v_lshrrev_b32_e32 v6, 16, v17
	v_lshrrev_b32_e32 v17, 2, v22
	v_cndmask_b32_e64 v22, 0, 1, vcc_lo
	s_or_b32 vcc_lo, s1, s0
	v_and_or_b32 v30, 0x8000, v6, v4
	v_add_co_ci_u32_e32 v17, vcc_lo, 0, v17, vcc_lo
	v_cmp_ne_u32_e32 vcc_lo, 0, v18
	v_or_b32_e32 v22, v27, v22
	v_lshl_or_b32 v27, v25, 12, v20
	v_cndmask_b32_e64 v18, 0, 1, vcc_lo
	v_cmp_gt_i32_e32 vcc_lo, 31, v29
	v_lshl_or_b32 v18, v18, 9, 0x7c00
	v_cndmask_b32_e32 v17, 0x7c00, v17, vcc_lo
	v_cmp_gt_i32_e32 vcc_lo, 1, v25
	v_cndmask_b32_e32 v22, v27, v22, vcc_lo
	v_cmp_eq_u32_e32 vcc_lo, 0x40f, v29
	v_bfe_u32 v29, v10, 20, 11
	v_or_b32_e32 v27, 0x1000, v9
	v_lshrrev_b32_e32 v10, 16, v10
	v_and_b32_e32 v4, 7, v22
	v_cndmask_b32_e32 v17, v17, v18, vcc_lo
	v_lshrrev_b32_e32 v18, 16, v5
	v_cmp_ne_u32_e32 vcc_lo, v19, v26
	v_sub_nc_u32_e32 v6, 0x3f1, v29
	v_cmp_lt_i32_e64 s0, 5, v4
	v_cmp_eq_u32_e64 s1, 3, v4
	v_mul_f16_sdwa v19, v123, v18 dst_sel:DWORD dst_unused:UNUSED_PAD src0_sel:WORD_1 src1_sel:DWORD
	v_cndmask_b32_e64 v4, 0, 1, vcc_lo
	v_cmp_gt_i32_e32 vcc_lo, 1, v23
	v_med3_i32 v32, v6, 0, 13
	v_lshrrev_b32_e32 v6, 2, v22
	v_fmac_f16_e32 v19, v123, v5
	v_mul_f16_sdwa v5, v123, v5 dst_sel:DWORD dst_unused:UNUSED_PAD src0_sel:WORD_1 src1_sel:DWORD
	v_or_b32_e32 v4, v21, v4
	v_sub_nc_u32_e32 v21, 0x3f1, v31
	v_lshrrev_b32_e32 v26, v28, v27
	v_fma_f16 v18, v123, v18, -v5
	v_lshl_or_b32 v5, v23, 12, v15
	v_med3_i32 v21, v21, 0, 13
	v_cndmask_b32_e32 v22, v5, v4, vcc_lo
	s_or_b32 vcc_lo, s1, s0
	v_cvt_f64_f32_e32 v[3:4], v3
	v_add_co_ci_u32_e32 v5, vcc_lo, 0, v6, vcc_lo
	v_cmp_ne_u32_e32 vcc_lo, 0, v20
	v_and_or_b32 v20, 0x8000, v14, v17
	v_and_b32_e32 v14, 7, v22
	v_cvt_f32_f16_e32 v17, v19
	v_cndmask_b32_e64 v6, 0, 1, vcc_lo
	v_cmp_gt_i32_e32 vcc_lo, 31, v25
	v_cmp_eq_u32_e64 s0, 3, v14
	v_lshl_or_b32 v6, v6, 9, 0x7c00
	v_cndmask_b32_e32 v5, 0x7c00, v5, vcc_lo
	v_cmp_eq_u32_e32 vcc_lo, 0x40f, v25
	v_lshrrev_b32_e32 v25, v32, v33
	v_cndmask_b32_e32 v19, v5, v6, vcc_lo
	v_cmp_lt_i32_e32 vcc_lo, 5, v14
	v_lshrrev_b32_e32 v14, 2, v22
	v_cvt_f64_f32_e32 v[5:6], v17
	v_lshrrev_b32_e32 v22, v21, v34
	v_and_or_b32 v8, 0x8000, v8, v19
	s_or_b32 vcc_lo, s0, vcc_lo
	s_mul_i32 s0, s9, 0x10e0
	v_add_co_ci_u32_e32 v17, vcc_lo, 0, v14, vcc_lo
	v_cmp_ne_u32_e32 vcc_lo, 0, v15
	v_mul_f64 v[14:15], v[3:4], s[6:7]
	v_cvt_f32_f16_e32 v3, v18
	s_add_i32 s2, s2, s0
	v_cndmask_b32_e64 v35, 0, 1, vcc_lo
	v_cmp_gt_i32_e32 vcc_lo, 31, v23
	v_lshl_or_b32 v35, v35, 9, 0x7c00
	v_cndmask_b32_e32 v36, 0x7c00, v17, vcc_lo
	v_cvt_f64_f32_e32 v[17:18], v3
	v_cmp_eq_u32_e32 vcc_lo, 0x40f, v23
	v_lshlrev_b32_e32 v23, v28, v26
	v_mul_f64 v[3:4], v[5:6], s[6:7]
	v_lshrrev_b32_e32 v6, 16, v16
	v_lshlrev_b32_e32 v28, v32, v25
	v_cndmask_b32_e32 v5, v36, v35, vcc_lo
	v_lshlrev_b32_e32 v32, v21, v22
	v_and_b32_e32 v21, 0xffff, v30
	v_and_or_b32 v5, 0x8000, v6, v5
	v_and_b32_e32 v6, 0xffff, v8
	v_and_or_b32 v8, 0x1ff, v15, v14
	v_lshl_or_b32 v16, v20, 16, v21
	v_add_co_u32 v20, vcc_lo, v11, s3
	v_lshl_or_b32 v14, v5, 16, v6
	v_add_co_ci_u32_e32 v21, vcc_lo, s2, v12, vcc_lo
	v_cmp_ne_u32_e32 vcc_lo, 0, v8
	global_store_dword v[11:12], v16, off
	global_store_dword v[20:21], v14, off
	v_mul_f64 v[5:6], v[17:18], s[6:7]
	v_lshrrev_b32_e32 v17, 8, v15
	v_and_or_b32 v3, 0x1ff, v4, v3
	v_cndmask_b32_e64 v8, 0, 1, vcc_lo
	v_lshrrev_b32_e32 v11, 8, v4
	v_bfe_u32 v30, v15, 20, 11
	v_bfe_u32 v19, v4, 20, 11
	v_cmp_ne_u32_e32 vcc_lo, 0, v3
	v_and_or_b32 v12, 0xffe, v17, v8
	v_lshrrev_b32_e32 v4, 16, v4
	v_sub_nc_u32_e32 v8, 0x3f1, v30
	v_sub_nc_u32_e32 v14, 0x3f1, v19
	v_cndmask_b32_e64 v3, 0, 1, vcc_lo
	v_add_co_u32 v16, vcc_lo, v20, s3
	v_add_co_ci_u32_e32 v17, vcc_lo, s2, v21, vcc_lo
	v_and_or_b32 v18, 0xffe, v11, v3
	v_cmp_ne_u32_e32 vcc_lo, v23, v27
	v_med3_i32 v21, v8, 0, 13
	v_add_nc_u32_e32 v8, 0xfffffc10, v24
	v_add_nc_u32_e32 v24, 0xfffffc10, v29
	v_and_or_b32 v3, 0x1ff, v6, v5
	v_cndmask_b32_e64 v5, 0, 1, vcc_lo
	v_med3_i32 v11, v14, 0, 13
	v_lshl_or_b32 v20, v8, 12, v9
	v_lshrrev_b32_e32 v14, 8, v6
	v_cmp_ne_u32_e32 vcc_lo, 0, v3
	v_or_b32_e32 v5, v26, v5
	v_mul_f16_sdwa v29, v120, v2 dst_sel:DWORD dst_unused:UNUSED_PAD src0_sel:WORD_1 src1_sel:DWORD
	v_cmp_gt_i32_e64 s1, 31, v8
	v_or_b32_e32 v35, 0x1000, v12
	v_cndmask_b32_e64 v3, 0, 1, vcc_lo
	v_cmp_ne_u32_e32 vcc_lo, v28, v33
	v_lshrrev_b32_e32 v28, 16, v2
	v_cndmask_b32_e64 v23, 0, 1, vcc_lo
	v_cmp_gt_i32_e32 vcc_lo, 1, v8
	v_mul_f16_sdwa v27, v120, v28 dst_sel:DWORD dst_unused:UNUSED_PAD src0_sel:WORD_1 src1_sel:DWORD
	v_cndmask_b32_e32 v26, v20, v5, vcc_lo
	v_or_b32_e32 v20, v25, v23
	v_lshl_or_b32 v23, v24, 12, v13
	v_fmac_f16_e32 v27, v120, v2
	v_cmp_gt_i32_e32 vcc_lo, 1, v24
	v_and_or_b32 v5, 0xffe, v14, v3
	v_and_b32_e32 v3, 7, v26
	v_lshrrev_b32_e32 v25, 2, v26
	v_cndmask_b32_e32 v14, v23, v20, vcc_lo
	v_cvt_f32_f16_e32 v23, v27
	v_cmp_lt_i32_e32 vcc_lo, 5, v3
	v_cmp_eq_u32_e64 s0, 3, v3
	v_bfe_u32 v20, v6, 20, 11
	v_and_b32_e32 v26, 7, v14
	v_cvt_f64_f32_e32 v[2:3], v23
	s_or_b32 vcc_lo, s0, vcc_lo
	v_add_co_ci_u32_e32 v23, vcc_lo, 0, v25, vcc_lo
	v_cmp_ne_u32_e32 vcc_lo, 0, v9
	v_cmp_eq_u32_e64 s0, 3, v26
	v_or_b32_e32 v25, 0x1000, v18
	v_cndmask_b32_e64 v23, 0x7c00, v23, s1
	v_cmp_eq_u32_e64 s1, 0x40f, v8
	v_cndmask_b32_e64 v9, 0, 1, vcc_lo
	v_cmp_lt_i32_e32 vcc_lo, 5, v26
	v_sub_nc_u32_e32 v26, 0x3f1, v20
	v_lshrrev_b32_e32 v8, 2, v14
	v_add_nc_u32_e32 v20, 0xfffffc10, v20
	v_lshl_or_b32 v9, v9, 9, 0x7c00
	s_or_b32 vcc_lo, s0, vcc_lo
	v_med3_i32 v14, v26, 0, 13
	v_add_co_ci_u32_e32 v27, vcc_lo, 0, v8, vcc_lo
	v_cndmask_b32_e64 v26, v23, v9, s1
	v_mul_f64 v[8:9], v[2:3], s[6:7]
	v_cmp_ne_u32_e32 vcc_lo, 0, v13
	v_or_b32_e32 v23, 0x1000, v5
	s_mul_hi_u32 s0, s8, 0xffffdff0
	v_and_or_b32 v7, 0x8000, v7, v26
	s_mul_i32 s1, s9, 0xffffdff0
	v_cndmask_b32_e64 v13, 0, 1, vcc_lo
	v_cmp_gt_i32_e32 vcc_lo, 31, v24
	s_sub_i32 s4, s0, s8
	s_add_i32 s4, s4, s1
	v_lshl_or_b32 v3, v13, 9, 0x7c00
	v_cndmask_b32_e32 v2, 0x7c00, v27, vcc_lo
	v_cmp_eq_u32_e32 vcc_lo, 0x40f, v24
	v_lshrrev_b32_e32 v24, v14, v23
	v_lshrrev_b32_e32 v27, v11, v25
	;; [unrolled: 1-line block ×3, first 2 shown]
	v_cndmask_b32_e32 v2, v2, v3, vcc_lo
	v_cmp_ne_u32_e32 vcc_lo, v32, v34
	v_lshlrev_b32_e32 v26, v14, v24
	v_lshlrev_b32_e32 v33, v11, v27
	v_and_or_b32 v14, 0x1ff, v9, v8
	v_and_or_b32 v2, 0x8000, v10, v2
	v_and_b32_e32 v10, 0xffff, v7
	v_cndmask_b32_e64 v7, 0, 1, vcc_lo
	v_fma_f16 v11, v120, v28, -v29
	v_add_nc_u32_e32 v28, 0xfffffc10, v31
	v_cmp_ne_u32_e32 vcc_lo, 0, v14
	v_lshlrev_b32_e32 v3, v21, v13
	v_or_b32_e32 v21, v22, v7
	ds_read2_b32 v[7:8], v124 offset0:88 offset1:196
	v_lshl_or_b32 v22, v28, 12, v0
	v_cndmask_b32_e64 v14, 0, 1, vcc_lo
	v_cmp_gt_i32_e32 vcc_lo, 1, v28
	v_lshrrev_b32_e32 v29, 8, v9
	v_lshl_or_b32 v32, v2, 16, v10
	v_cndmask_b32_e32 v31, v22, v21, vcc_lo
	v_cmp_ne_u32_e32 vcc_lo, v3, v35
	v_and_or_b32 v21, 0xffe, v29, v14
	v_add_nc_u32_e32 v29, 0xfffffc10, v30
	v_bfe_u32 v22, v9, 20, 11
	v_and_b32_e32 v2, 7, v31
	v_cndmask_b32_e64 v3, 0, 1, vcc_lo
	global_store_dword v[16:17], v32, off
	v_cmp_gt_i32_e64 s1, 1, v29
	v_lshrrev_b32_e32 v9, 16, v9
	v_cmp_lt_i32_e32 vcc_lo, 5, v2
	v_cmp_eq_u32_e64 s0, 3, v2
	v_cvt_f32_f16_e32 v2, v11
	v_or_b32_e32 v10, v13, v3
	v_lshl_or_b32 v11, v29, 12, v12
	s_waitcnt lgkmcnt(0)
	v_lshrrev_b32_e32 v30, 16, v7
	v_lshrrev_b32_e32 v13, 2, v31
	v_cvt_f64_f32_e32 v[2:3], v2
	s_or_b32 vcc_lo, s0, vcc_lo
	v_cndmask_b32_e64 v10, v11, v10, s1
	v_mul_f16_sdwa v11, v119, v30 dst_sel:DWORD dst_unused:UNUSED_PAD src0_sel:WORD_1 src1_sel:DWORD
	v_add_co_ci_u32_e32 v13, vcc_lo, 0, v13, vcc_lo
	v_cmp_gt_i32_e32 vcc_lo, 31, v28
	v_and_b32_e32 v14, 7, v10
	v_fmac_f16_e32 v11, v119, v7
	v_cmp_ne_u32_e64 s1, 0, v0
	v_mul_f16_sdwa v7, v119, v7 dst_sel:DWORD dst_unused:UNUSED_PAD src0_sel:WORD_1 src1_sel:DWORD
	v_cndmask_b32_e32 v34, 0x7c00, v13, vcc_lo
	v_cmp_lt_i32_e32 vcc_lo, 5, v14
	v_cmp_eq_u32_e64 s0, 3, v14
	v_cvt_f32_f16_e32 v11, v11
	v_lshrrev_b32_e32 v13, 2, v10
	v_cndmask_b32_e64 v0, 0, 1, s1
	v_sub_nc_u32_e32 v31, 0x3f1, v22
	s_or_b32 vcc_lo, s0, vcc_lo
	v_cvt_f64_f32_e32 v[10:11], v11
	v_add_co_ci_u32_e32 v35, vcc_lo, 0, v13, vcc_lo
	v_cmp_ne_u32_e32 vcc_lo, 0, v12
	v_mul_f64 v[13:14], v[2:3], s[6:7]
	v_lshl_or_b32 v0, v0, 9, 0x7c00
	v_fma_f16 v3, v119, v30, -v7
	v_or_b32_e32 v30, 0x1000, v21
	v_cndmask_b32_e64 v2, 0, 1, vcc_lo
	v_cmp_gt_i32_e32 vcc_lo, 31, v29
	v_cmp_gt_i32_e64 s1, 1, v20
	v_lshl_or_b32 v2, v2, 9, 0x7c00
	v_cndmask_b32_e32 v7, 0x7c00, v35, vcc_lo
	v_cmp_eq_u32_e32 vcc_lo, 0x40f, v28
	v_cndmask_b32_e32 v12, v34, v0, vcc_lo
	v_cvt_f32_f16_e32 v0, v3
	v_cmp_eq_u32_e32 vcc_lo, 0x40f, v29
	v_lshrrev_b32_e32 v3, 16, v1
	v_mul_f64 v[10:11], v[10:11], s[6:7]
	v_cvt_f64_f32_e32 v[0:1], v0
	v_cndmask_b32_e32 v2, v7, v2, vcc_lo
	v_lshrrev_b32_e32 v7, 16, v15
	v_and_or_b32 v3, 0x8000, v3, v12
	v_add_co_u32 v28, vcc_lo, v16, s5
	v_add_co_ci_u32_e32 v29, vcc_lo, s4, v17, vcc_lo
	v_and_or_b32 v2, 0x8000, v7, v2
	v_and_or_b32 v7, 0x1ff, v14, v13
	v_med3_i32 v12, v31, 0, 13
	v_and_b32_e32 v3, 0xffff, v3
	v_bfe_u32 v32, v14, 20, 11
	v_add_nc_u32_e32 v15, 0xfffffc10, v19
	v_cmp_ne_u32_e32 vcc_lo, 0, v7
	v_lshrrev_b32_e32 v31, v12, v30
	v_lshl_or_b32 v2, v2, 16, v3
	v_lshrrev_b32_e32 v7, 8, v14
	v_cndmask_b32_e64 v3, 0, 1, vcc_lo
	v_lshlrev_b32_e32 v17, v12, v31
	global_store_dword v[28:29], v2, off
	v_mul_f64 v[12:13], v[0:1], s[6:7]
	v_and_or_b32 v1, 0x1ff, v11, v10
	v_and_or_b32 v34, 0xffe, v7, v3
	ds_read2_b32 v[2:3], v121 offset0:16 offset1:124
	v_add_co_u32 v28, vcc_lo, v28, s3
	v_add_co_ci_u32_e32 v29, vcc_lo, s2, v29, vcc_lo
	v_sub_nc_u32_e32 v0, 0x3f1, v32
	v_cmp_ne_u32_e32 vcc_lo, 0, v1
	v_lshrrev_b32_e32 v1, 8, v11
	v_or_b32_e32 v36, 0x1000, v34
	v_med3_i32 v35, v0, 0, 13
	v_cndmask_b32_e64 v0, 0, 1, vcc_lo
	v_cmp_ne_u32_e32 vcc_lo, v33, v25
	v_bfe_u32 v25, v11, 20, 11
	v_lshrrev_b32_e32 v19, v35, v36
	v_and_or_b32 v7, 0xffe, v1, v0
	v_cndmask_b32_e64 v10, 0, 1, vcc_lo
	v_lshl_or_b32 v1, v15, 12, v18
	v_cmp_gt_i32_e32 vcc_lo, 1, v15
	v_and_or_b32 v12, 0x1ff, v13, v12
	v_or_b32_e32 v0, v27, v10
	s_waitcnt lgkmcnt(0)
	v_lshrrev_b32_e32 v27, 16, v2
	v_sub_nc_u32_e32 v10, 0x3f1, v25
	v_cndmask_b32_e32 v16, v1, v0, vcc_lo
	v_mul_f16_sdwa v0, v118, v27 dst_sel:DWORD dst_unused:UNUSED_PAD src0_sel:WORD_1 src1_sel:DWORD
	v_cmp_ne_u32_e32 vcc_lo, 0, v12
	v_med3_i32 v33, v10, 0, 13
	v_lshrrev_b32_e32 v12, 8, v13
	v_and_b32_e32 v1, 7, v16
	v_fmac_f16_e32 v0, v118, v2
	v_cndmask_b32_e64 v10, 0, 1, vcc_lo
	v_cmp_ne_u32_e32 vcc_lo, v26, v23
	v_mul_f16_sdwa v2, v118, v2 dst_sel:DWORD dst_unused:UNUSED_PAD src0_sel:WORD_1 src1_sel:DWORD
	v_cmp_eq_u32_e64 s0, 3, v1
	v_cvt_f32_f16_e32 v0, v0
	v_and_or_b32 v10, 0xffe, v12, v10
	v_cndmask_b32_e64 v23, 0, 1, vcc_lo
	v_cmp_lt_i32_e32 vcc_lo, 5, v1
	v_lshrrev_b32_e32 v12, 2, v16
	v_cvt_f64_f32_e32 v[0:1], v0
	v_fma_f16 v2, v118, v27, -v2
	v_or_b32_e32 v23, v24, v23
	s_or_b32 vcc_lo, s0, vcc_lo
	v_lshl_or_b32 v24, v20, 12, v5
	v_add_co_ci_u32_e32 v12, vcc_lo, 0, v12, vcc_lo
	v_cmp_ne_u32_e32 vcc_lo, 0, v18
	v_cvt_f32_f16_e32 v2, v2
	v_cndmask_b32_e64 v16, v24, v23, s1
	v_bfe_u32 v23, v13, 20, 11
	v_cndmask_b32_e64 v18, 0, 1, vcc_lo
	v_cmp_gt_i32_e32 vcc_lo, 31, v15
	v_and_b32_e32 v24, 7, v16
	v_lshrrev_b32_e32 v26, 2, v16
	v_lshl_or_b32 v18, v18, 9, 0x7c00
	v_cndmask_b32_e32 v12, 0x7c00, v12, vcc_lo
	v_cmp_eq_u32_e32 vcc_lo, 0x40f, v15
	v_sub_nc_u32_e32 v15, 0x3f1, v23
	v_cmp_lt_i32_e64 s0, 5, v24
	v_cmp_eq_u32_e64 s1, 3, v24
	v_or_b32_e32 v24, 0x1000, v7
	v_add_nc_u32_e32 v23, 0xfffffc10, v23
	v_med3_i32 v37, v15, 0, 13
	v_mul_f64 v[15:16], v[0:1], s[6:7]
	s_or_b32 s0, s1, s0
	v_add_co_ci_u32_e64 v0, s0, 0, v26, s0
	v_cmp_ne_u32_e64 s0, 0, v5
	v_cndmask_b32_e32 v5, v12, v18, vcc_lo
	v_cmp_gt_i32_e32 vcc_lo, 31, v20
	v_lshrrev_b32_e32 v26, v33, v24
	v_or_b32_e32 v12, 0x1000, v10
	v_cndmask_b32_e64 v1, 0, 1, s0
	v_and_or_b32 v4, 0x8000, v4, v5
	v_cndmask_b32_e32 v0, 0x7c00, v0, vcc_lo
	v_cmp_eq_u32_e32 vcc_lo, 0x40f, v20
	v_add_nc_u32_e32 v20, 0xfffffc10, v22
	v_lshl_or_b32 v1, v1, 9, 0x7c00
	v_lshlrev_b32_e32 v5, v35, v19
	v_and_b32_e32 v4, 0xffff, v4
	v_lshrrev_b32_e32 v38, v37, v12
	v_lshl_or_b32 v27, v20, 12, v21
	v_cndmask_b32_e32 v0, v0, v1, vcc_lo
	v_cmp_ne_u32_e32 vcc_lo, v17, v30
	v_and_or_b32 v15, 0x1ff, v16, v15
	v_lshrrev_b32_e32 v1, 16, v6
	v_lshrrev_b32_e32 v22, 8, v16
	v_cmp_eq_u32_e64 s1, 0x40f, v20
	v_cndmask_b32_e64 v17, 0, 1, vcc_lo
	v_cmp_ne_u32_e32 vcc_lo, 0, v15
	v_and_or_b32 v18, 0x8000, v1, v0
	ds_read2_b32 v[0:1], v122 offset0:72 offset1:180
	v_lshlrev_b32_e32 v6, v33, v26
	v_or_b32_e32 v17, v31, v17
	v_cndmask_b32_e64 v15, 0, 1, vcc_lo
	v_cmp_gt_i32_e32 vcc_lo, 1, v20
	v_lshl_or_b32 v30, v18, 16, v4
	v_lshlrev_b32_e32 v33, v37, v38
	v_bfe_u32 v31, v16, 20, 11
	v_and_or_b32 v22, 0xffe, v22, v15
	v_cndmask_b32_e32 v15, v27, v17, vcc_lo
	v_cmp_ne_u32_e32 vcc_lo, v5, v36
	v_add_nc_u32_e32 v27, 0xfffffc10, v32
	v_cvt_f64_f32_e32 v[4:5], v2
	global_store_dword v[28:29], v30, off
	v_sub_nc_u32_e32 v35, 0x3f1, v31
	v_cndmask_b32_e64 v17, 0, 1, vcc_lo
	v_lshl_or_b32 v18, v27, 12, v34
	v_cmp_gt_i32_e32 vcc_lo, 1, v27
	v_med3_i32 v35, v35, 0, 13
	v_or_b32_e32 v17, v19, v17
	v_and_b32_e32 v19, 7, v15
	s_waitcnt lgkmcnt(0)
	v_lshrrev_b32_e32 v2, 16, v0
	v_lshrrev_b32_e32 v15, 2, v15
	v_cndmask_b32_e32 v36, v18, v17, vcc_lo
	v_cmp_lt_i32_e32 vcc_lo, 5, v19
	v_cmp_eq_u32_e64 s0, 3, v19
	v_mul_f16_sdwa v32, v117, v2 dst_sel:DWORD dst_unused:UNUSED_PAD src0_sel:WORD_1 src1_sel:DWORD
	v_and_b32_e32 v19, 7, v36
	s_or_b32 vcc_lo, s0, vcc_lo
	v_fmac_f16_e32 v32, v117, v0
	v_add_co_ci_u32_e32 v15, vcc_lo, 0, v15, vcc_lo
	v_cmp_ne_u32_e32 vcc_lo, 0, v21
	v_cmp_gt_i32_e64 s0, 31, v20
	v_cvt_f32_f16_e32 v17, v32
	v_mul_f16_sdwa v0, v117, v0 dst_sel:DWORD dst_unused:UNUSED_PAD src0_sel:WORD_1 src1_sel:DWORD
	v_mul_f64 v[4:5], v[4:5], s[6:7]
	v_cndmask_b32_e64 v21, 0, 1, vcc_lo
	v_cmp_lt_i32_e32 vcc_lo, 5, v19
	v_cndmask_b32_e64 v15, 0x7c00, v15, s0
	v_cmp_eq_u32_e64 s0, 3, v19
	v_lshrrev_b32_e32 v19, 2, v36
	v_cvt_f64_f32_e32 v[17:18], v17
	v_fma_f16 v0, v117, v2, -v0
	v_lshl_or_b32 v21, v21, 9, 0x7c00
	s_or_b32 vcc_lo, s0, vcc_lo
	v_add_co_ci_u32_e32 v2, vcc_lo, 0, v19, vcc_lo
	v_cmp_ne_u32_e32 vcc_lo, 0, v34
	v_cvt_f32_f16_e32 v0, v0
	v_cndmask_b32_e64 v15, v15, v21, s1
	v_cmp_gt_i32_e64 s1, 1, v23
	v_lshrrev_b32_e32 v34, 16, v8
	v_cndmask_b32_e64 v19, 0, 1, vcc_lo
	v_cmp_gt_i32_e32 vcc_lo, 31, v27
	v_and_or_b32 v9, 0x8000, v9, v15
	v_and_or_b32 v4, 0x1ff, v5, v4
	v_lshl_or_b32 v21, v19, 9, 0x7c00
	v_cvt_f64_f32_e32 v[19:20], v0
	v_cndmask_b32_e32 v2, 0x7c00, v2, vcc_lo
	v_cmp_eq_u32_e32 vcc_lo, 0x40f, v27
	v_or_b32_e32 v27, 0x1000, v22
	v_mul_f64 v[17:18], v[17:18], s[6:7]
	v_mul_f16_sdwa v36, v114, v34 dst_sel:DWORD dst_unused:UNUSED_PAD src0_sel:WORD_1 src1_sel:DWORD
	v_cndmask_b32_e32 v0, v2, v21, vcc_lo
	v_cmp_ne_u32_e32 vcc_lo, 0, v4
	v_lshrrev_b32_e32 v2, 16, v14
	v_lshrrev_b32_e32 v14, 8, v5
	;; [unrolled: 1-line block ×3, first 2 shown]
	v_bfe_u32 v21, v5, 20, 11
	v_cndmask_b32_e64 v4, 0, 1, vcc_lo
	v_and_or_b32 v0, 0x8000, v2, v0
	v_and_b32_e32 v2, 0xffff, v9
	v_fmac_f16_e32 v36, v114, v8
	v_sub_nc_u32_e32 v9, 0x3f1, v21
	v_and_or_b32 v4, 0xffe, v14, v4
	v_add_co_u32 v14, vcc_lo, v28, s3
	v_add_co_ci_u32_e32 v15, vcc_lo, s2, v29, vcc_lo
	v_mul_f64 v[19:20], v[19:20], s[6:7]
	v_lshl_or_b32 v0, v0, 16, v2
	v_lshlrev_b32_e32 v28, v35, v32
	v_and_or_b32 v17, 0x1ff, v18, v17
	v_med3_i32 v2, v9, 0, 13
	v_or_b32_e32 v9, 0x1000, v4
	global_store_dword v[14:15], v0, off
	v_lshrrev_b32_e32 v29, 8, v18
	v_cmp_ne_u32_e32 vcc_lo, 0, v17
	v_bfe_u32 v30, v18, 20, 11
	v_lshrrev_b32_e32 v0, v2, v9
	v_cndmask_b32_e64 v17, 0, 1, vcc_lo
	v_add_co_u32 v14, vcc_lo, v14, s5
	v_add_co_ci_u32_e32 v15, vcc_lo, s4, v15, vcc_lo
	v_cmp_ne_u32_e32 vcc_lo, v6, v24
	v_add_nc_u32_e32 v24, 0xfffffc10, v25
	v_lshlrev_b32_e32 v2, v2, v0
	v_sub_nc_u32_e32 v35, 0x3f1, v30
	v_and_or_b32 v19, 0x1ff, v20, v19
	v_cndmask_b32_e64 v6, 0, 1, vcc_lo
	v_and_or_b32 v17, 0xffe, v29, v17
	v_mul_f16_sdwa v29, v114, v8 dst_sel:DWORD dst_unused:UNUSED_PAD src0_sel:WORD_1 src1_sel:DWORD
	v_med3_i32 v35, v35, 0, 13
	v_cmp_ne_u32_e32 vcc_lo, 0, v19
	v_or_b32_e32 v6, v26, v6
	v_lshl_or_b32 v26, v24, 12, v7
	v_or_b32_e32 v8, 0x1000, v17
	v_fma_f16 v29, v114, v34, -v29
	v_cndmask_b32_e64 v19, 0, 1, vcc_lo
	v_cmp_gt_i32_e32 vcc_lo, 1, v24
	v_lshrrev_b32_e32 v25, 8, v20
	v_lshrrev_b32_e32 v37, v35, v8
	v_bfe_u32 v34, v20, 20, 11
	v_cndmask_b32_e32 v6, v26, v6, vcc_lo
	v_cmp_ne_u32_e32 vcc_lo, v33, v12
	v_lshlrev_b32_e32 v35, v35, v37
	v_and_or_b32 v19, 0xffe, v25, v19
	v_sub_nc_u32_e32 v25, 0x3f1, v34
	v_and_b32_e32 v26, 7, v6
	v_cndmask_b32_e64 v12, 0, 1, vcc_lo
	v_lshrrev_b32_e32 v6, 2, v6
	v_or_b32_e32 v33, 0x1000, v19
	v_med3_i32 v25, v25, 0, 13
	v_cmp_lt_i32_e32 vcc_lo, 5, v26
	v_or_b32_e32 v12, v38, v12
	v_lshl_or_b32 v38, v23, 12, v10
	v_cmp_eq_u32_e64 s0, 3, v26
	v_lshrrev_b32_e32 v26, v25, v33
	v_cndmask_b32_e64 v12, v38, v12, s1
	s_or_b32 vcc_lo, s0, vcc_lo
	v_cmp_ne_u32_e64 s1, v28, v27
	v_add_co_ci_u32_e32 v6, vcc_lo, 0, v6, vcc_lo
	v_and_b32_e32 v38, 7, v12
	v_cmp_gt_i32_e32 vcc_lo, 31, v24
	v_lshrrev_b32_e32 v12, 2, v12
	v_cndmask_b32_e64 v27, 0, 1, s1
	v_add_nc_u32_e32 v28, 0xfffffc10, v31
	v_cmp_eq_u32_e64 s0, 3, v38
	v_cndmask_b32_e32 v6, 0x7c00, v6, vcc_lo
	v_cmp_lt_i32_e32 vcc_lo, 5, v38
	v_cmp_ne_u32_e64 s1, 0, v7
	v_or_b32_e32 v27, v32, v27
	v_lshl_or_b32 v31, v28, 12, v22
	v_lshlrev_b32_e32 v25, v25, v26
	s_or_b32 vcc_lo, s0, vcc_lo
	v_cndmask_b32_e64 v7, 0, 1, s1
	v_add_co_ci_u32_e32 v12, vcc_lo, 0, v12, vcc_lo
	v_cmp_ne_u32_e32 vcc_lo, 0, v10
	v_cmp_ne_u32_e64 s0, v2, v9
	v_lshl_or_b32 v7, v7, 9, 0x7c00
	v_add_nc_u32_e32 v9, 0xfffffc10, v21
	v_cmp_ne_u32_e64 s1, v35, v8
	v_cndmask_b32_e64 v10, 0, 1, vcc_lo
	v_cmp_gt_i32_e32 vcc_lo, 1, v28
	v_cndmask_b32_e64 v2, 0, 1, s0
	v_cndmask_b32_e64 v8, 0, 1, s1
	v_lshl_or_b32 v10, v10, 9, 0x7c00
	v_cndmask_b32_e32 v27, v31, v27, vcc_lo
	v_cmp_gt_i32_e32 vcc_lo, 31, v23
	v_or_b32_e32 v0, v0, v2
	v_lshl_or_b32 v2, v9, 12, v4
	v_or_b32_e32 v8, v37, v8
	v_and_b32_e32 v31, 7, v27
	v_cndmask_b32_e32 v12, 0x7c00, v12, vcc_lo
	v_cmp_eq_u32_e32 vcc_lo, 0x40f, v24
	v_cmp_eq_u32_e64 s0, 3, v31
	v_cndmask_b32_e32 v6, v6, v7, vcc_lo
	v_cmp_eq_u32_e32 vcc_lo, 0x40f, v23
	v_lshrrev_b32_e32 v7, 16, v11
	v_lshrrev_b32_e32 v11, 16, v13
	v_cndmask_b32_e32 v10, v12, v10, vcc_lo
	v_cmp_lt_i32_e32 vcc_lo, 5, v31
	v_lshrrev_b32_e32 v12, 2, v27
	v_and_or_b32 v10, 0x8000, v11, v10
	s_or_b32 vcc_lo, s0, vcc_lo
	v_add_co_ci_u32_e32 v12, vcc_lo, 0, v12, vcc_lo
	v_cmp_ne_u32_e32 vcc_lo, 0, v22
	v_cndmask_b32_e64 v13, 0, 1, vcc_lo
	v_cmp_gt_i32_e32 vcc_lo, 1, v9
	v_cndmask_b32_e32 v0, v2, v0, vcc_lo
	v_cmp_gt_i32_e32 vcc_lo, 31, v28
	v_and_or_b32 v2, 0x8000, v7, v6
	v_lshl_or_b32 v7, v13, 9, 0x7c00
	v_cndmask_b32_e32 v6, 0x7c00, v12, vcc_lo
	v_and_b32_e32 v12, 7, v0
	v_cmp_eq_u32_e32 vcc_lo, 0x40f, v28
	v_lshrrev_b32_e32 v0, 2, v0
	v_and_b32_e32 v2, 0xffff, v2
	v_cmp_eq_u32_e64 s0, 3, v12
	v_cndmask_b32_e32 v11, v6, v7, vcc_lo
	v_cmp_lt_i32_e32 vcc_lo, 5, v12
	v_add_nc_u32_e32 v12, 0xfffffc10, v30
	v_cvt_f32_f16_e32 v6, v36
	v_lshl_or_b32 v2, v10, 16, v2
	s_or_b32 vcc_lo, s0, vcc_lo
	v_lshl_or_b32 v13, v12, 12, v17
	v_add_co_ci_u32_e32 v0, vcc_lo, 0, v0, vcc_lo
	v_cmp_ne_u32_e32 vcc_lo, 0, v4
	v_cvt_f64_f32_e32 v[6:7], v6
	v_cmp_ne_u32_e64 s0, v25, v33
	global_store_dword v[14:15], v2, off
	v_cmp_eq_u32_e64 s1, 0x40f, v12
	v_cndmask_b32_e64 v4, 0, 1, vcc_lo
	v_cmp_gt_i32_e32 vcc_lo, 31, v9
	v_lshl_or_b32 v4, v4, 9, 0x7c00
	v_cndmask_b32_e32 v0, 0x7c00, v0, vcc_lo
	v_cmp_gt_i32_e32 vcc_lo, 1, v12
	v_cndmask_b32_e32 v8, v13, v8, vcc_lo
	v_cmp_eq_u32_e32 vcc_lo, 0x40f, v9
	v_lshrrev_b32_e32 v13, 16, v16
	v_and_b32_e32 v9, 7, v8
	v_cndmask_b32_e32 v0, v0, v4, vcc_lo
	v_lshrrev_b32_e32 v4, 16, v5
	v_cvt_f32_f16_e32 v5, v29
	v_and_or_b32 v10, 0x8000, v13, v11
	v_cmp_lt_i32_e32 vcc_lo, 5, v9
	v_cndmask_b32_e64 v11, 0, 1, s0
	v_and_or_b32 v0, 0x8000, v4, v0
	v_cvt_f64_f32_e32 v[4:5], v5
	v_cmp_eq_u32_e64 s0, 3, v9
	v_mul_f64 v[6:7], v[6:7], s[6:7]
	v_lshrrev_b32_e32 v8, 2, v8
	v_add_nc_u32_e32 v13, 0xfffffc10, v34
	v_and_b32_e32 v9, 0xffff, v10
	s_or_b32 vcc_lo, s0, vcc_lo
	v_or_b32_e32 v10, v26, v11
	v_add_co_ci_u32_e32 v8, vcc_lo, 0, v8, vcc_lo
	v_cmp_ne_u32_e32 vcc_lo, 0, v17
	v_lshl_or_b32 v11, v13, 12, v19
	v_lshl_or_b32 v0, v0, 16, v9
	v_cndmask_b32_e64 v16, 0, 1, vcc_lo
	v_cmp_gt_i32_e32 vcc_lo, 1, v13
	v_cndmask_b32_e32 v10, v11, v10, vcc_lo
	v_mul_f64 v[4:5], v[4:5], s[6:7]
	v_cmp_gt_i32_e32 vcc_lo, 31, v12
	v_lshl_or_b32 v11, v16, 9, 0x7c00
	v_and_or_b32 v6, 0x1ff, v7, v6
	v_and_b32_e32 v16, 7, v10
	v_lshrrev_b32_e32 v10, 2, v10
	v_cndmask_b32_e32 v2, 0x7c00, v8, vcc_lo
	v_add_co_u32 v8, vcc_lo, v14, s3
	v_lshrrev_b32_e32 v14, 16, v3
	v_add_co_ci_u32_e32 v9, vcc_lo, s2, v15, vcc_lo
	v_cndmask_b32_e64 v12, v2, v11, s1
	v_cmp_ne_u32_e64 s1, 0, v6
	v_mul_f16_sdwa v2, v112, v14 dst_sel:DWORD dst_unused:UNUSED_PAD src0_sel:WORD_1 src1_sel:DWORD
	v_cmp_lt_i32_e32 vcc_lo, 5, v16
	v_cmp_eq_u32_e64 s0, 3, v16
	v_lshrrev_b32_e32 v11, 8, v7
	v_cndmask_b32_e64 v6, 0, 1, s1
	v_bfe_u32 v15, v7, 20, 11
	v_fmac_f16_e32 v2, v112, v3
	s_or_b32 vcc_lo, s0, vcc_lo
	v_and_or_b32 v4, 0x1ff, v5, v4
	v_and_or_b32 v6, 0xffe, v11, v6
	v_sub_nc_u32_e32 v11, 0x3f1, v15
	v_cvt_f32_f16_e32 v2, v2
	v_add_co_ci_u32_e32 v17, vcc_lo, 0, v10, vcc_lo
	v_cmp_ne_u32_e32 vcc_lo, 0, v4
	v_med3_i32 v21, v11, 0, 13
	v_cvt_f64_f32_e32 v[10:11], v2
	v_lshrrev_b32_e32 v16, 16, v18
	v_or_b32_e32 v18, 0x1000, v6
	v_cndmask_b32_e64 v2, 0, 1, vcc_lo
	v_cmp_ne_u32_e32 vcc_lo, 0, v19
	v_lshrrev_b32_e32 v4, 8, v5
	v_bfe_u32 v22, v5, 20, 11
	v_lshrrev_b32_e32 v23, v21, v18
	v_add_nc_u32_e32 v15, 0xfffffc10, v15
	v_cndmask_b32_e64 v19, 0, 1, vcc_lo
	v_cmp_gt_i32_e32 vcc_lo, 31, v13
	v_and_or_b32 v4, 0xffe, v4, v2
	v_lshlrev_b32_e32 v21, v21, v23
	v_sub_nc_u32_e32 v2, 0x3f1, v22
	v_lshl_or_b32 v19, v19, 9, 0x7c00
	v_cndmask_b32_e32 v17, 0x7c00, v17, vcc_lo
	v_cmp_eq_u32_e32 vcc_lo, 0x40f, v13
	v_or_b32_e32 v24, 0x1000, v4
	v_med3_i32 v25, v2, 0, 13
	v_and_or_b32 v12, 0x8000, v16, v12
	global_store_dword v[8:9], v0, off
	v_cndmask_b32_e32 v13, v17, v19, vcc_lo
	v_mul_f16_sdwa v19, v112, v3 dst_sel:DWORD dst_unused:UNUSED_PAD src0_sel:WORD_1 src1_sel:DWORD
	v_cmp_ne_u32_e32 vcc_lo, v21, v18
	v_mul_f64 v[2:3], v[10:11], s[6:7]
	v_lshrrev_b32_e32 v17, 16, v20
	v_lshrrev_b32_e32 v20, v25, v24
	v_fma_f16 v10, v112, v14, -v19
	v_cndmask_b32_e64 v18, 0, 1, vcc_lo
	v_cmp_gt_i32_e32 vcc_lo, 1, v15
	v_and_or_b32 v13, 0x8000, v17, v13
	v_lshlrev_b32_e32 v14, v25, v20
	v_cvt_f32_f16_e32 v10, v10
	v_or_b32_e32 v11, v23, v18
	v_lshl_or_b32 v18, v15, 12, v6
	v_and_b32_e32 v12, 0xffff, v12
	v_add_nc_u32_e32 v17, 0xfffffc10, v22
	v_cndmask_b32_e32 v16, v18, v11, vcc_lo
	v_cvt_f64_f32_e32 v[10:11], v10
	v_cmp_ne_u32_e32 vcc_lo, v14, v24
	v_lshl_or_b32 v0, v13, 16, v12
	v_lshl_or_b32 v13, v17, 12, v4
	v_and_b32_e32 v18, 7, v16
	v_cmp_gt_i32_e64 s1, 1, v17
	v_cndmask_b32_e64 v14, 0, 1, vcc_lo
	v_and_or_b32 v2, 0x1ff, v3, v2
	v_cmp_lt_i32_e32 vcc_lo, 5, v18
	v_cmp_eq_u32_e64 s0, 3, v18
	v_or_b32_e32 v12, v20, v14
	v_lshrrev_b32_e32 v14, 2, v16
	v_bfe_u32 v16, v3, 20, 11
	v_lshrrev_b32_e32 v20, 16, v1
	s_or_b32 vcc_lo, s0, vcc_lo
	v_cndmask_b32_e64 v12, v13, v12, s1
	v_add_co_ci_u32_e32 v13, vcc_lo, 0, v14, vcc_lo
	v_cmp_ne_u32_e32 vcc_lo, 0, v2
	v_lshrrev_b32_e32 v14, 8, v3
	v_and_b32_e32 v18, 7, v12
	v_mul_f64 v[10:11], v[10:11], s[6:7]
	v_add_co_u32 v8, s1, v8, s3
	v_cndmask_b32_e64 v2, 0, 1, vcc_lo
	v_cmp_ne_u32_e32 vcc_lo, 0, v6
	v_cmp_eq_u32_e64 s0, 3, v18
	v_add_co_ci_u32_e64 v9, s1, s2, v9, s1
	v_and_or_b32 v2, 0xffe, v14, v2
	v_cndmask_b32_e64 v6, 0, 1, vcc_lo
	v_sub_nc_u32_e32 v14, 0x3f1, v16
	v_cmp_gt_i32_e32 vcc_lo, 31, v15
	v_cmp_eq_u32_e64 s1, 0x40f, v15
	v_lshrrev_b32_e32 v12, 2, v12
	v_lshl_or_b32 v6, v6, 9, 0x7c00
	v_med3_i32 v14, v14, 0, 13
	v_cndmask_b32_e32 v13, 0x7c00, v13, vcc_lo
	v_cmp_lt_i32_e32 vcc_lo, 5, v18
	v_or_b32_e32 v18, 0x1000, v2
	v_lshrrev_b32_e32 v15, 16, v7
	v_add_nc_u32_e32 v16, 0xfffffc10, v16
	v_cndmask_b32_e64 v13, v13, v6, s1
	v_and_or_b32 v10, 0x1ff, v11, v10
	v_lshrrev_b32_e32 v19, v14, v18
	s_or_b32 vcc_lo, s0, vcc_lo
	v_bfe_u32 v21, v11, 20, 11
	v_add_co_ci_u32_e32 v12, vcc_lo, 0, v12, vcc_lo
	v_lshlrev_b32_e32 v6, v14, v19
	v_mul_f16_sdwa v14, v113, v20 dst_sel:DWORD dst_unused:UNUSED_PAD src0_sel:WORD_1 src1_sel:DWORD
	v_cmp_ne_u32_e32 vcc_lo, 0, v10
	v_lshrrev_b32_e32 v10, 8, v11
	v_lshl_or_b32 v22, v16, 12, v2
	global_store_dword v[8:9], v0, off
	v_fmac_f16_e32 v14, v113, v1
	v_cndmask_b32_e64 v7, 0, 1, vcc_lo
	v_cmp_ne_u32_e32 vcc_lo, v6, v18
	v_mul_f16_sdwa v1, v113, v1 dst_sel:DWORD dst_unused:UNUSED_PAD src0_sel:WORD_1 src1_sel:DWORD
	v_and_or_b32 v13, 0x8000, v15, v13
	v_cvt_f32_f16_e32 v14, v14
	v_and_or_b32 v10, 0xffe, v10, v7
	v_cndmask_b32_e64 v18, 0, 1, vcc_lo
	v_cmp_ne_u32_e32 vcc_lo, 0, v4
	v_fma_f16 v0, v113, v20, -v1
	v_cvt_f64_f32_e32 v[6:7], v14
	v_sub_nc_u32_e32 v14, 0x3f1, v21
	v_or_b32_e32 v18, v19, v18
	v_cndmask_b32_e64 v4, 0, 1, vcc_lo
	v_or_b32_e32 v19, 0x1000, v10
	v_cmp_gt_i32_e32 vcc_lo, 31, v17
	v_med3_i32 v14, v14, 0, 13
	v_cvt_f32_f16_e32 v0, v0
	v_lshl_or_b32 v4, v4, 9, 0x7c00
	v_and_b32_e32 v13, 0xffff, v13
	v_cndmask_b32_e32 v12, 0x7c00, v12, vcc_lo
	v_lshrrev_b32_e32 v23, v14, v19
	v_cmp_gt_i32_e32 vcc_lo, 1, v16
	v_lshrrev_b32_e32 v11, 16, v11
	v_lshlrev_b32_e32 v14, v14, v23
	v_cndmask_b32_e32 v18, v22, v18, vcc_lo
	v_cmp_eq_u32_e32 vcc_lo, 0x40f, v17
	v_lshrrev_b32_e32 v17, 16, v5
	v_cmp_ne_u32_e64 s0, v14, v19
	v_and_b32_e32 v22, 7, v18
	v_cndmask_b32_e32 v12, v12, v4, vcc_lo
	v_mul_f64 v[4:5], v[6:7], s[6:7]
	v_lshrrev_b32_e32 v15, 2, v18
	v_cndmask_b32_e64 v1, 0, 1, s0
	v_cmp_lt_i32_e32 vcc_lo, 5, v22
	v_cmp_eq_u32_e64 s0, 3, v22
	v_cvt_f64_f32_e32 v[6:7], v0
	v_add_nc_u32_e32 v14, 0xfffffc10, v21
	v_or_b32_e32 v1, v23, v1
	v_and_or_b32 v12, 0x8000, v17, v12
	s_or_b32 vcc_lo, s0, vcc_lo
	v_add_co_ci_u32_e32 v15, vcc_lo, 0, v15, vcc_lo
	v_lshl_or_b32 v18, v14, 12, v10
	v_cmp_gt_i32_e32 vcc_lo, 1, v14
	v_lshl_or_b32 v19, v12, 16, v13
	v_cndmask_b32_e32 v17, v18, v1, vcc_lo
	v_cmp_ne_u32_e32 vcc_lo, 0, v2
	ds_read2_b32 v[0:1], v103 offset0:48 offset1:156
	v_and_or_b32 v4, 0x1ff, v5, v4
	v_lshrrev_b32_e32 v13, 8, v5
	v_and_b32_e32 v18, 7, v17
	v_cndmask_b32_e64 v2, 0, 1, vcc_lo
	v_cmp_gt_i32_e32 vcc_lo, 31, v16
	v_mul_f64 v[6:7], v[6:7], s[6:7]
	v_lshrrev_b32_e32 v12, 2, v17
	v_cmp_eq_u32_e64 s0, 3, v18
	v_cmp_ne_u32_e64 s1, 0, v4
	v_cndmask_b32_e32 v15, 0x7c00, v15, vcc_lo
	v_cmp_lt_i32_e32 vcc_lo, 5, v18
	v_bfe_u32 v17, v5, 20, 11
	v_lshl_or_b32 v2, v2, 9, 0x7c00
	v_cndmask_b32_e64 v4, 0, 1, s1
	s_or_b32 vcc_lo, s0, vcc_lo
	v_add_co_ci_u32_e32 v12, vcc_lo, 0, v12, vcc_lo
	v_cmp_ne_u32_e32 vcc_lo, 0, v10
	s_waitcnt lgkmcnt(0)
	v_lshrrev_b32_e32 v18, 16, v0
	v_and_or_b32 v4, 0xffe, v13, v4
	v_sub_nc_u32_e32 v13, 0x3f1, v17
	v_cndmask_b32_e64 v10, 0, 1, vcc_lo
	v_cmp_gt_i32_e32 vcc_lo, 31, v14
	v_mul_f16_sdwa v20, v108, v18 dst_sel:DWORD dst_unused:UNUSED_PAD src0_sel:WORD_1 src1_sel:DWORD
	v_or_b32_e32 v21, 0x1000, v4
	v_med3_i32 v13, v13, 0, 13
	v_lshl_or_b32 v10, v10, 9, 0x7c00
	v_cndmask_b32_e32 v12, 0x7c00, v12, vcc_lo
	v_cmp_eq_u32_e32 vcc_lo, 0x40f, v16
	v_fmac_f16_e32 v20, v108, v0
	v_lshrrev_b32_e32 v22, v13, v21
	v_and_or_b32 v6, 0x1ff, v7, v6
	v_lshrrev_b32_e32 v16, 16, v3
	v_cndmask_b32_e32 v15, v15, v2, vcc_lo
	v_cmp_eq_u32_e32 vcc_lo, 0x40f, v14
	v_cvt_f32_f16_e32 v2, v20
	v_lshrrev_b32_e32 v14, 8, v7
	v_mul_f16_sdwa v0, v108, v0 dst_sel:DWORD dst_unused:UNUSED_PAD src0_sel:WORD_1 src1_sel:DWORD
	v_cndmask_b32_e32 v10, v12, v10, vcc_lo
	v_lshlrev_b32_e32 v12, v13, v22
	v_cmp_ne_u32_e32 vcc_lo, 0, v6
	v_cvt_f64_f32_e32 v[2:3], v2
	v_and_or_b32 v13, 0x8000, v16, v15
	v_bfe_u32 v15, v7, 20, 11
	v_add_nc_u32_e32 v16, 0xfffffc10, v17
	v_cndmask_b32_e64 v6, 0, 1, vcc_lo
	v_cmp_ne_u32_e32 vcc_lo, v12, v21
	v_and_or_b32 v17, 0x8000, v11, v10
	v_fma_f16 v0, v108, v18, -v0
	v_lshl_or_b32 v11, v16, 12, v4
	v_and_or_b32 v6, 0xffe, v14, v6
	v_cndmask_b32_e64 v12, 0, 1, vcc_lo
	v_sub_nc_u32_e32 v14, 0x3f1, v15
	v_cmp_gt_i32_e32 vcc_lo, 1, v16
	v_and_b32_e32 v13, 0xffff, v13
	v_or_b32_e32 v20, 0x1000, v6
	v_or_b32_e32 v10, v22, v12
	v_med3_i32 v12, v14, 0, 13
	v_cvt_f32_f16_e32 v0, v0
	v_lshl_or_b32 v18, v17, 16, v13
	v_lshrrev_b32_e32 v7, 16, v7
	v_cndmask_b32_e32 v14, v11, v10, vcc_lo
	v_lshrrev_b32_e32 v21, v12, v20
	v_mul_f64 v[10:11], v[2:3], s[6:7]
	v_add_co_u32 v8, vcc_lo, v8, s5
	v_and_b32_e32 v2, 7, v14
	v_lshlrev_b32_e32 v3, v12, v21
	v_add_co_ci_u32_e32 v9, vcc_lo, s4, v9, vcc_lo
	v_cvt_f64_f32_e32 v[12:13], v0
	v_cmp_lt_i32_e32 vcc_lo, 5, v2
	v_cmp_eq_u32_e64 s0, 3, v2
	v_lshrrev_b32_e32 v2, 2, v14
	v_cmp_ne_u32_e64 s1, v3, v20
	v_add_nc_u32_e32 v14, 0xfffffc10, v15
	global_store_dword v[8:9], v19, off
	s_or_b32 vcc_lo, s0, vcc_lo
	v_add_co_ci_u32_e32 v15, vcc_lo, 0, v2, vcc_lo
	v_cndmask_b32_e64 v0, 0, 1, s1
	v_cmp_ne_u32_e32 vcc_lo, 0, v4
	v_lshl_or_b32 v17, v14, 12, v6
	ds_read2_b32 v[2:3], v111 offset0:104 offset1:212
	v_and_or_b32 v10, 0x1ff, v11, v10
	v_or_b32_e32 v0, v21, v0
	v_cndmask_b32_e64 v4, 0, 1, vcc_lo
	v_cmp_gt_i32_e32 vcc_lo, 1, v14
	v_bfe_u32 v20, v11, 20, 11
	v_mul_f64 v[12:13], v[12:13], s[6:7]
	v_cndmask_b32_e32 v0, v17, v0, vcc_lo
	v_cmp_gt_i32_e32 vcc_lo, 31, v16
	v_lshrrev_b32_e32 v17, 8, v11
	v_lshl_or_b32 v4, v4, 9, 0x7c00
	v_and_b32_e32 v21, 7, v0
	v_cndmask_b32_e32 v15, 0x7c00, v15, vcc_lo
	v_cmp_ne_u32_e32 vcc_lo, 0, v10
	v_lshrrev_b32_e32 v0, 2, v0
	v_cmp_eq_u32_e64 s0, 3, v21
	s_waitcnt lgkmcnt(0)
	v_lshrrev_b32_e32 v22, 16, v2
	v_cndmask_b32_e64 v10, 0, 1, vcc_lo
	v_cmp_lt_i32_e32 vcc_lo, 5, v21
	v_mul_f16_sdwa v23, v110, v22 dst_sel:DWORD dst_unused:UNUSED_PAD src0_sel:WORD_1 src1_sel:DWORD
	v_and_or_b32 v10, 0xffe, v17, v10
	s_or_b32 vcc_lo, s0, vcc_lo
	v_sub_nc_u32_e32 v17, 0x3f1, v20
	v_add_co_ci_u32_e32 v0, vcc_lo, 0, v0, vcc_lo
	v_cmp_eq_u32_e32 vcc_lo, 0x40f, v16
	v_or_b32_e32 v21, 0x1000, v10
	v_med3_i32 v17, v17, 0, 13
	v_fmac_f16_e32 v23, v110, v2
	v_and_or_b32 v12, 0x1ff, v13, v12
	v_cndmask_b32_e32 v15, v15, v4, vcc_lo
	v_cmp_ne_u32_e32 vcc_lo, 0, v6
	v_lshrrev_b32_e32 v24, v17, v21
	v_cvt_f32_f16_e32 v16, v23
	v_bfe_u32 v23, v13, 20, 11
	v_add_nc_u32_e32 v20, 0xfffffc10, v20
	v_cndmask_b32_e64 v4, 0, 1, vcc_lo
	v_cmp_gt_i32_e32 vcc_lo, 31, v14
	v_lshlrev_b32_e32 v6, v17, v24
	v_lshrrev_b32_e32 v17, 16, v5
	v_mul_f16_sdwa v2, v110, v2 dst_sel:DWORD dst_unused:UNUSED_PAD src0_sel:WORD_1 src1_sel:DWORD
	v_lshl_or_b32 v4, v4, 9, 0x7c00
	v_cndmask_b32_e32 v0, 0x7c00, v0, vcc_lo
	v_cmp_eq_u32_e32 vcc_lo, 0x40f, v14
	v_lshrrev_b32_e32 v14, 8, v13
	v_fma_f16 v2, v110, v22, -v2
	v_add_nc_u32_e32 v19, 0xfffffc10, v23
	v_cndmask_b32_e32 v0, v0, v4, vcc_lo
	v_cvt_f64_f32_e32 v[4:5], v16
	v_cmp_ne_u32_e32 vcc_lo, 0, v12
	v_lshl_or_b32 v16, v20, 12, v10
	v_cvt_f32_f16_e32 v2, v2
	v_and_or_b32 v0, 0x8000, v7, v0
	v_cndmask_b32_e64 v12, 0, 1, vcc_lo
	v_cmp_ne_u32_e32 vcc_lo, v6, v21
	v_and_or_b32 v12, 0xffe, v14, v12
	v_cndmask_b32_e64 v6, 0, 1, vcc_lo
	v_sub_nc_u32_e32 v14, 0x3f1, v23
	v_cmp_gt_i32_e32 vcc_lo, 1, v20
	v_or_b32_e32 v21, 0x1000, v12
	v_or_b32_e32 v6, v24, v6
	v_med3_i32 v24, v14, 0, 13
	v_and_or_b32 v14, 0x8000, v17, v15
	v_cndmask_b32_e32 v22, v16, v6, vcc_lo
	v_mul_f64 v[6:7], v[4:5], s[6:7]
	v_lshrrev_b32_e32 v25, v24, v21
	v_add_co_u32 v16, vcc_lo, v8, s3
	v_and_b32_e32 v4, 7, v22
	v_and_b32_e32 v26, 0xffff, v14
	v_cvt_f64_f32_e32 v[14:15], v2
	v_lshlrev_b32_e32 v2, v24, v25
	v_add_co_ci_u32_e32 v17, vcc_lo, s2, v9, vcc_lo
	v_cmp_lt_i32_e32 vcc_lo, 5, v4
	v_cmp_eq_u32_e64 s0, 3, v4
	v_lshrrev_b32_e32 v8, 2, v22
	v_cmp_ne_u32_e64 s1, v2, v21
	ds_read2_b32 v[4:5], v116 offset0:32 offset1:140
	v_lshl_or_b32 v0, v0, 16, v26
	s_or_b32 vcc_lo, s0, vcc_lo
	v_add_co_ci_u32_e32 v21, vcc_lo, 0, v8, vcc_lo
	v_cndmask_b32_e64 v2, 0, 1, s1
	v_cmp_ne_u32_e32 vcc_lo, 0, v10
	v_lshl_or_b32 v8, v19, 12, v12
	v_and_or_b32 v6, 0x1ff, v7, v6
	v_or_b32_e32 v2, v25, v2
	v_cndmask_b32_e64 v10, 0, 1, vcc_lo
	v_cmp_gt_i32_e32 vcc_lo, 1, v19
	v_lshl_or_b32 v10, v10, 9, 0x7c00
	v_cndmask_b32_e32 v2, v8, v2, vcc_lo
	v_cmp_ne_u32_e32 vcc_lo, 0, v6
	v_mul_f64 v[8:9], v[14:15], s[6:7]
	v_lshrrev_b32_e32 v14, 8, v7
	v_and_b32_e32 v22, 7, v2
	v_cndmask_b32_e64 v6, 0, 1, vcc_lo
	v_cmp_gt_i32_e32 vcc_lo, 31, v20
	v_lshrrev_b32_e32 v2, 2, v2
	v_cmp_eq_u32_e64 s0, 3, v22
	v_and_or_b32 v6, 0xffe, v14, v6
	v_cndmask_b32_e32 v15, 0x7c00, v21, vcc_lo
	v_cmp_eq_u32_e32 vcc_lo, 0x40f, v20
	s_waitcnt lgkmcnt(0)
	v_lshrrev_b32_e32 v14, 16, v4
	v_bfe_u32 v21, v7, 20, 11
	v_or_b32_e32 v20, 0x1000, v6
	v_cndmask_b32_e32 v15, v15, v10, vcc_lo
	v_cmp_lt_i32_e32 vcc_lo, 5, v22
	v_mul_f16_sdwa v10, v109, v14 dst_sel:DWORD dst_unused:UNUSED_PAD src0_sel:WORD_1 src1_sel:DWORD
	v_sub_nc_u32_e32 v23, 0x3f1, v21
	v_lshrrev_b32_e32 v22, 16, v11
	s_or_b32 vcc_lo, s0, vcc_lo
	v_fmac_f16_e32 v10, v109, v4
	v_add_co_ci_u32_e32 v2, vcc_lo, 0, v2, vcc_lo
	v_cmp_ne_u32_e32 vcc_lo, 0, v12
	v_med3_i32 v23, v23, 0, 13
	v_and_or_b32 v8, 0x1ff, v9, v8
	v_cvt_f32_f16_e32 v10, v10
	v_lshrrev_b32_e32 v25, 8, v9
	v_cndmask_b32_e64 v12, 0, 1, vcc_lo
	v_cmp_gt_i32_e32 vcc_lo, 31, v19
	v_lshrrev_b32_e32 v24, v23, v20
	v_cvt_f64_f32_e32 v[10:11], v10
	v_bfe_u32 v26, v9, 20, 11
	v_lshl_or_b32 v12, v12, 9, 0x7c00
	v_cndmask_b32_e32 v2, 0x7c00, v2, vcc_lo
	v_cmp_ne_u32_e32 vcc_lo, 0, v8
	v_lshlrev_b32_e32 v23, v23, v24
	v_and_or_b32 v22, 0x8000, v22, v15
	v_mul_f16_sdwa v4, v109, v4 dst_sel:DWORD dst_unused:UNUSED_PAD src0_sel:WORD_1 src1_sel:DWORD
	v_cndmask_b32_e64 v8, 0, 1, vcc_lo
	v_cmp_ne_u32_e32 vcc_lo, v23, v20
	v_sub_nc_u32_e32 v20, 0x3f1, v26
	v_fma_f16 v4, v109, v14, -v4
	v_lshrrev_b32_e32 v23, 16, v13
	v_and_or_b32 v8, 0xffe, v25, v8
	v_cndmask_b32_e64 v15, 0, 1, vcc_lo
	v_cmp_eq_u32_e32 vcc_lo, 0x40f, v19
	v_add_nc_u32_e32 v19, 0xfffffc10, v21
	v_med3_i32 v20, v20, 0, 13
	v_or_b32_e32 v21, 0x1000, v8
	v_cvt_f32_f16_e32 v4, v4
	v_cndmask_b32_e32 v2, v2, v12, vcc_lo
	v_or_b32_e32 v12, v24, v15
	v_lshl_or_b32 v14, v19, 12, v6
	v_lshrrev_b32_e32 v24, v20, v21
	v_cmp_gt_i32_e32 vcc_lo, 1, v19
	v_mul_f64 v[10:11], v[10:11], s[6:7]
	v_and_or_b32 v2, 0x8000, v23, v2
	v_lshlrev_b32_e32 v20, v20, v24
	v_cndmask_b32_e32 v25, v14, v12, vcc_lo
	v_add_co_u32 v14, vcc_lo, v16, s3
	v_add_co_ci_u32_e32 v15, vcc_lo, s2, v17, vcc_lo
	v_cvt_f64_f32_e32 v[12:13], v4
	v_and_b32_e32 v4, 0xffff, v22
	v_and_b32_e32 v22, 7, v25
	v_cmp_ne_u32_e32 vcc_lo, v20, v21
	global_store_dword v[16:17], v18, off
	global_store_dword v[14:15], v0, off
	v_lshrrev_b32_e32 v16, 2, v25
	v_lshl_or_b32 v2, v2, 16, v4
	v_cmp_eq_u32_e64 s0, 3, v22
	v_cndmask_b32_e64 v0, 0, 1, vcc_lo
	v_cmp_lt_i32_e32 vcc_lo, 5, v22
	v_add_nc_u32_e32 v4, 0xfffffc10, v26
	v_lshrrev_b32_e32 v25, 16, v7
	v_or_b32_e32 v0, v24, v0
	s_or_b32 vcc_lo, s0, vcc_lo
	v_lshl_or_b32 v17, v4, 12, v8
	v_add_co_ci_u32_e32 v16, vcc_lo, 0, v16, vcc_lo
	v_cmp_ne_u32_e32 vcc_lo, 0, v6
	v_and_or_b32 v10, 0x1ff, v11, v10
	v_bfe_u32 v18, v11, 20, 11
	v_mul_f64 v[12:13], v[12:13], s[6:7]
	v_cndmask_b32_e64 v6, 0, 1, vcc_lo
	v_cmp_gt_i32_e32 vcc_lo, 1, v4
	v_lshl_or_b32 v6, v6, 9, 0x7c00
	v_cndmask_b32_e32 v0, v17, v0, vcc_lo
	v_cmp_ne_u32_e32 vcc_lo, 0, v10
	v_lshrrev_b32_e32 v17, 8, v11
	v_lshrrev_b32_e32 v11, 16, v11
	v_and_b32_e32 v20, 7, v0
	v_cndmask_b32_e64 v10, 0, 1, vcc_lo
	v_cmp_gt_i32_e32 vcc_lo, 31, v19
	v_lshrrev_b32_e32 v0, 2, v0
	v_cmp_eq_u32_e64 s0, 3, v20
	v_and_or_b32 v10, 0xffe, v17, v10
	v_cndmask_b32_e32 v16, 0x7c00, v16, vcc_lo
	v_add_co_u32 v14, vcc_lo, v14, s5
	v_sub_nc_u32_e32 v17, 0x3f1, v18
	v_add_co_ci_u32_e32 v15, vcc_lo, s4, v15, vcc_lo
	v_cmp_eq_u32_e32 vcc_lo, 0x40f, v19
	v_or_b32_e32 v21, 0x1000, v10
	v_med3_i32 v17, v17, 0, 13
	v_and_or_b32 v12, 0x1ff, v13, v12
	v_lshrrev_b32_e32 v22, 8, v13
	v_cndmask_b32_e32 v19, v16, v6, vcc_lo
	v_cmp_lt_i32_e32 vcc_lo, 5, v20
	v_lshrrev_b32_e32 v6, 16, v1
	v_lshrrev_b32_e32 v16, v17, v21
	v_bfe_u32 v23, v13, 20, 11
	v_add_nc_u32_e32 v18, 0xfffffc10, v18
	s_or_b32 vcc_lo, s0, vcc_lo
	v_mul_f16_sdwa v20, v107, v6 dst_sel:DWORD dst_unused:UNUSED_PAD src0_sel:WORD_1 src1_sel:DWORD
	v_add_co_ci_u32_e32 v0, vcc_lo, 0, v0, vcc_lo
	v_lshlrev_b32_e32 v17, v17, v16
	v_cmp_ne_u32_e32 vcc_lo, 0, v12
	v_fmac_f16_e32 v20, v107, v1
	v_mul_f16_sdwa v1, v107, v1 dst_sel:DWORD dst_unused:UNUSED_PAD src0_sel:WORD_1 src1_sel:DWORD
	global_store_dword v[14:15], v2, off
	v_lshrrev_b32_e32 v13, 16, v13
	v_cndmask_b32_e64 v12, 0, 1, vcc_lo
	v_cmp_ne_u32_e32 vcc_lo, v17, v21
	v_cvt_f32_f16_e32 v20, v20
	v_sub_nc_u32_e32 v21, 0x3f1, v23
	v_fma_f16 v1, v107, v6, -v1
	v_and_or_b32 v12, 0xffe, v22, v12
	v_cndmask_b32_e64 v17, 0, 1, vcc_lo
	v_cmp_ne_u32_e32 vcc_lo, 0, v8
	v_med3_i32 v21, v21, 0, 13
	v_cvt_f32_f16_e32 v6, v1
	v_or_b32_e32 v24, 0x1000, v12
	v_or_b32_e32 v22, v16, v17
	v_cvt_f64_f32_e32 v[16:17], v20
	v_lshl_or_b32 v20, v18, 12, v10
	v_cndmask_b32_e64 v8, 0, 1, vcc_lo
	v_cmp_gt_i32_e32 vcc_lo, 1, v18
	v_cvt_f64_f32_e32 v[6:7], v6
	v_lshl_or_b32 v8, v8, 9, 0x7c00
	v_cndmask_b32_e32 v20, v20, v22, vcc_lo
	v_lshrrev_b32_e32 v22, v21, v24
	v_cmp_gt_i32_e32 vcc_lo, 31, v4
	v_and_b32_e32 v26, 7, v20
	v_lshlrev_b32_e32 v21, v21, v22
	v_cndmask_b32_e32 v0, 0x7c00, v0, vcc_lo
	v_cmp_eq_u32_e32 vcc_lo, 0x40f, v4
	v_cmp_ne_u32_e64 s0, v21, v24
	v_cndmask_b32_e32 v4, v0, v8, vcc_lo
	v_lshrrev_b32_e32 v8, 16, v9
	v_cmp_lt_i32_e32 vcc_lo, 5, v26
	v_cndmask_b32_e64 v9, 0, 1, s0
	v_cmp_eq_u32_e64 s0, 3, v26
	v_mul_f64 v[0:1], v[16:17], s[6:7]
	v_and_or_b32 v17, 0x8000, v25, v19
	v_lshrrev_b32_e32 v19, 2, v20
	v_add_nc_u32_e32 v16, 0xfffffc10, v23
	s_or_b32 vcc_lo, s0, vcc_lo
	v_or_b32_e32 v9, v22, v9
	v_and_or_b32 v4, 0x8000, v8, v4
	v_add_co_ci_u32_e32 v19, vcc_lo, 0, v19, vcc_lo
	v_cmp_ne_u32_e32 vcc_lo, 0, v10
	v_lshl_or_b32 v20, v16, 12, v12
	v_and_b32_e32 v8, 0xffff, v17
	v_mul_f64 v[6:7], v[6:7], s[6:7]
	v_lshrrev_b32_e32 v22, 16, v5
	v_cndmask_b32_e64 v10, 0, 1, vcc_lo
	v_cmp_gt_i32_e32 vcc_lo, 1, v16
	v_lshl_or_b32 v10, v10, 9, 0x7c00
	v_cndmask_b32_e32 v9, v20, v9, vcc_lo
	v_cmp_gt_i32_e32 vcc_lo, 31, v18
	v_and_or_b32 v0, 0x1ff, v1, v0
	v_and_b32_e32 v2, 7, v9
	v_cndmask_b32_e32 v17, 0x7c00, v19, vcc_lo
	v_cmp_eq_u32_e32 vcc_lo, 0x40f, v18
	v_lshl_or_b32 v19, v4, 16, v8
	v_cmp_ne_u32_e64 s1, 0, v0
	v_cmp_eq_u32_e64 s0, 3, v2
	v_lshrrev_b32_e32 v8, 8, v1
	v_cndmask_b32_e32 v4, v17, v10, vcc_lo
	v_cmp_lt_i32_e32 vcc_lo, 5, v2
	v_lshrrev_b32_e32 v2, 2, v9
	v_cndmask_b32_e64 v0, 0, 1, s1
	v_bfe_u32 v10, v1, 20, 11
	v_lshrrev_b32_e32 v17, 16, v3
	s_or_b32 vcc_lo, s0, vcc_lo
	v_and_or_b32 v6, 0x1ff, v7, v6
	v_add_co_ci_u32_e32 v2, vcc_lo, 0, v2, vcc_lo
	v_cmp_ne_u32_e32 vcc_lo, 0, v12
	v_and_or_b32 v0, 0xffe, v8, v0
	v_sub_nc_u32_e32 v8, 0x3f1, v10
	v_mul_f16_sdwa v12, v104, v17 dst_sel:DWORD dst_unused:UNUSED_PAD src0_sel:WORD_1 src1_sel:DWORD
	v_and_or_b32 v4, 0x8000, v11, v4
	v_cndmask_b32_e64 v9, 0, 1, vcc_lo
	v_cmp_gt_i32_e32 vcc_lo, 31, v16
	v_or_b32_e32 v18, 0x1000, v0
	v_med3_i32 v20, v8, 0, 13
	v_fmac_f16_e32 v12, v104, v3
	v_lshl_or_b32 v8, v9, 9, 0x7c00
	v_cndmask_b32_e32 v2, 0x7c00, v2, vcc_lo
	v_cmp_eq_u32_e32 vcc_lo, 0x40f, v16
	v_lshrrev_b32_e32 v21, v20, v18
	v_cvt_f32_f16_e32 v9, v12
	v_lshrrev_b32_e32 v12, 8, v7
	v_bfe_u32 v16, v7, 20, 11
	v_cndmask_b32_e32 v2, v2, v8, vcc_lo
	v_cmp_ne_u32_e32 vcc_lo, 0, v6
	v_cvt_f64_f32_e32 v[8:9], v9
	v_lshlrev_b32_e32 v20, v20, v21
	v_sub_nc_u32_e32 v11, 0x3f1, v16
	v_mul_f16_sdwa v3, v104, v3 dst_sel:DWORD dst_unused:UNUSED_PAD src0_sel:WORD_1 src1_sel:DWORD
	v_cndmask_b32_e64 v6, 0, 1, vcc_lo
	v_and_or_b32 v13, 0x8000, v13, v2
	v_cmp_ne_u32_e32 vcc_lo, v20, v18
	v_add_nc_u32_e32 v18, 0xfffffc10, v10
	v_med3_i32 v11, v11, 0, 13
	v_and_or_b32 v6, 0xffe, v12, v6
	v_fma_f16 v17, v104, v17, -v3
	v_cndmask_b32_e64 v12, 0, 1, vcc_lo
	v_lshl_or_b32 v20, v18, 12, v0
	v_cmp_gt_i32_e32 vcc_lo, 1, v18
	v_or_b32_e32 v10, 0x1000, v6
	v_and_b32_e32 v4, 0xffff, v4
	v_or_b32_e32 v12, v21, v12
	v_cvt_f32_f16_e32 v17, v17
	v_lshrrev_b32_e32 v21, v11, v10
	v_cndmask_b32_e32 v12, v20, v12, vcc_lo
	v_mul_f64 v[2:3], v[8:9], s[6:7]
	v_add_co_u32 v8, vcc_lo, v14, s3
	v_lshlrev_b32_e32 v11, v11, v21
	v_add_co_ci_u32_e32 v9, vcc_lo, s2, v15, vcc_lo
	v_and_b32_e32 v20, 7, v12
	v_add_nc_u32_e32 v15, 0xfffffc10, v16
	v_cmp_ne_u32_e32 vcc_lo, v11, v10
	v_lshl_or_b32 v16, v13, 16, v4
	v_lshrrev_b32_e32 v4, 2, v12
	v_cmp_eq_u32_e64 s0, 3, v20
	v_cvt_f64_f32_e32 v[10:11], v17
	v_cndmask_b32_e64 v14, 0, 1, vcc_lo
	v_cmp_lt_i32_e32 vcc_lo, 5, v20
	v_lshl_or_b32 v17, v15, 12, v6
	global_store_dword v[8:9], v19, off
	v_or_b32_e32 v14, v21, v14
	s_or_b32 vcc_lo, s0, vcc_lo
	v_add_co_ci_u32_e32 v4, vcc_lo, 0, v4, vcc_lo
	v_cmp_ne_u32_e32 vcc_lo, 0, v0
	v_and_or_b32 v2, 0x1ff, v3, v2
	v_lshrrev_b32_e32 v20, 8, v3
	v_bfe_u32 v21, v3, 20, 11
	v_lshrrev_b32_e32 v3, 16, v3
	v_cndmask_b32_e64 v0, 0, 1, vcc_lo
	v_add_co_u32 v12, vcc_lo, v8, s3
	v_add_co_ci_u32_e32 v13, vcc_lo, s2, v9, vcc_lo
	v_cmp_gt_i32_e32 vcc_lo, 1, v15
	v_mul_f64 v[10:11], v[10:11], s[6:7]
	v_lshl_or_b32 v0, v0, 9, 0x7c00
	global_store_dword v[12:13], v16, off
	v_cndmask_b32_e32 v14, v17, v14, vcc_lo
	v_cmp_gt_i32_e32 vcc_lo, 31, v18
	v_and_b32_e32 v17, 7, v14
	v_cndmask_b32_e32 v4, 0x7c00, v4, vcc_lo
	v_cmp_ne_u32_e32 vcc_lo, 0, v2
	v_cmp_eq_u32_e64 s0, 3, v17
	v_cndmask_b32_e64 v2, 0, 1, vcc_lo
	v_cmp_eq_u32_e32 vcc_lo, 0x40f, v18
	v_lshrrev_b32_e32 v18, 16, v1
	v_sub_nc_u32_e32 v1, 0x3f1, v21
	v_and_or_b32 v20, 0xffe, v20, v2
	v_cndmask_b32_e32 v4, v4, v0, vcc_lo
	v_cmp_lt_i32_e32 vcc_lo, 5, v17
	v_mul_f16_sdwa v0, v102, v22 dst_sel:DWORD dst_unused:UNUSED_PAD src0_sel:WORD_1 src1_sel:DWORD
	v_lshrrev_b32_e32 v2, 2, v14
	v_or_b32_e32 v14, 0x1000, v20
	v_med3_i32 v17, v1, 0, 13
	s_or_b32 vcc_lo, s0, vcc_lo
	v_fmac_f16_e32 v0, v102, v5
	v_add_co_ci_u32_e32 v2, vcc_lo, 0, v2, vcc_lo
	v_cmp_ne_u32_e32 vcc_lo, 0, v6
	v_and_or_b32 v10, 0x1ff, v11, v10
	v_cvt_f32_f16_e32 v0, v0
	v_lshrrev_b32_e32 v23, v17, v14
	v_lshrrev_b32_e32 v24, 8, v11
	v_cndmask_b32_e64 v6, 0, 1, vcc_lo
	v_cmp_gt_i32_e32 vcc_lo, 31, v15
	v_cvt_f64_f32_e32 v[0:1], v0
	v_lshlrev_b32_e32 v17, v17, v23
	v_bfe_u32 v25, v11, 20, 11
	v_lshl_or_b32 v6, v6, 9, 0x7c00
	v_cndmask_b32_e32 v2, 0x7c00, v2, vcc_lo
	v_cmp_ne_u32_e32 vcc_lo, 0, v10
	v_and_or_b32 v18, 0x8000, v18, v4
	v_cndmask_b32_e64 v10, 0, 1, vcc_lo
	v_cmp_ne_u32_e32 vcc_lo, v17, v14
	v_sub_nc_u32_e32 v14, 0x3f1, v25
	v_add_nc_u32_e32 v17, 0xfffffc10, v21
	v_mul_f16_sdwa v21, v102, v5 dst_sel:DWORD dst_unused:UNUSED_PAD src0_sel:WORD_1 src1_sel:DWORD
	v_and_or_b32 v10, 0xffe, v24, v10
	v_cndmask_b32_e64 v4, 0, 1, vcc_lo
	v_cmp_eq_u32_e32 vcc_lo, 0x40f, v15
	v_med3_i32 v14, v14, 0, 13
	v_or_b32_e32 v15, 0x1000, v10
	v_cndmask_b32_e32 v2, v2, v6, vcc_lo
	v_or_b32_e32 v6, v23, v4
	v_lshl_or_b32 v23, v17, 12, v20
	v_mul_f64 v[4:5], v[0:1], s[6:7]
	v_fma_f16 v1, v102, v22, -v21
	v_lshrrev_b32_e32 v21, v14, v15
	v_cmp_gt_i32_e32 vcc_lo, 1, v17
	v_lshrrev_b32_e32 v0, 16, v7
	v_cvt_f32_f16_e32 v1, v1
	v_lshlrev_b32_e32 v14, v14, v21
	v_cndmask_b32_e32 v22, v23, v6, vcc_lo
	v_and_or_b32 v0, 0x8000, v0, v2
	v_and_b32_e32 v2, 0xffff, v18
	v_cvt_f64_f32_e32 v[6:7], v1
	v_cmp_ne_u32_e32 vcc_lo, v14, v15
	v_and_b32_e32 v18, 7, v22
	v_add_nc_u32_e32 v14, 0xfffffc10, v25
	v_lshl_or_b32 v0, v0, 16, v2
	v_lshrrev_b32_e32 v2, 2, v22
	v_cndmask_b32_e64 v1, 0, 1, vcc_lo
	v_cmp_lt_i32_e32 vcc_lo, 5, v18
	v_cmp_eq_u32_e64 s0, 3, v18
	v_lshl_or_b32 v9, v14, 12, v10
	v_or_b32_e32 v8, v21, v1
	v_and_or_b32 v4, 0x1ff, v5, v4
	s_or_b32 vcc_lo, s0, vcc_lo
	v_bfe_u32 v21, v5, 20, 11
	v_add_co_ci_u32_e32 v15, vcc_lo, 0, v2, vcc_lo
	v_cmp_ne_u32_e32 vcc_lo, 0, v20
	ds_read2_b32 v[1:2], v105 offset0:136 offset1:244
	v_lshrrev_b32_e32 v20, 8, v5
	v_cndmask_b32_e64 v18, 0, 1, vcc_lo
	v_cmp_gt_i32_e32 vcc_lo, 1, v14
	v_mul_f64 v[6:7], v[6:7], s[6:7]
	v_lshl_or_b32 v18, v18, 9, 0x7c00
	v_cndmask_b32_e32 v19, v9, v8, vcc_lo
	v_cmp_ne_u32_e32 vcc_lo, 0, v4
	v_and_b32_e32 v22, 7, v19
	v_cndmask_b32_e64 v4, 0, 1, vcc_lo
	v_cmp_gt_i32_e32 vcc_lo, 31, v17
	v_cmp_eq_u32_e64 s0, 3, v22
	v_and_or_b32 v20, 0xffe, v20, v4
	v_cndmask_b32_e32 v15, 0x7c00, v15, vcc_lo
	v_add_co_u32 v8, vcc_lo, v12, s5
	v_add_co_ci_u32_e32 v9, vcc_lo, s4, v13, vcc_lo
	v_cmp_eq_u32_e32 vcc_lo, 0x40f, v17
	v_sub_nc_u32_e32 v4, 0x3f1, v21
	s_waitcnt lgkmcnt(0)
	v_lshrrev_b32_e32 v17, 16, v1
	v_and_or_b32 v6, 0x1ff, v7, v6
	v_lshrrev_b32_e32 v24, 8, v7
	v_cndmask_b32_e32 v15, v15, v18, vcc_lo
	v_cmp_lt_i32_e32 vcc_lo, 5, v22
	v_med3_i32 v23, v4, 0, 13
	v_mul_f16_sdwa v4, v101, v17 dst_sel:DWORD dst_unused:UNUSED_PAD src0_sel:WORD_1 src1_sel:DWORD
	v_or_b32_e32 v18, 0x1000, v20
	v_and_or_b32 v15, 0x8000, v3, v15
	v_lshrrev_b32_e32 v3, 2, v19
	s_or_b32 vcc_lo, s0, vcc_lo
	v_fmac_f16_e32 v4, v101, v1
	v_lshrrev_b32_e32 v19, v23, v18
	v_bfe_u32 v25, v7, 20, 11
	v_add_co_ci_u32_e32 v22, vcc_lo, 0, v3, vcc_lo
	v_cmp_ne_u32_e32 vcc_lo, 0, v10
	v_cvt_f32_f16_e32 v3, v4
	v_lshlrev_b32_e32 v23, v23, v19
	v_add_nc_u32_e32 v21, 0xfffffc10, v21
	v_mul_f16_sdwa v1, v101, v1 dst_sel:DWORD dst_unused:UNUSED_PAD src0_sel:WORD_1 src1_sel:DWORD
	v_cndmask_b32_e64 v10, 0, 1, vcc_lo
	v_cmp_ne_u32_e32 vcc_lo, 0, v6
	v_cvt_f64_f32_e32 v[3:4], v3
	global_store_dword v[8:9], v0, off
	v_fma_f16 v1, v101, v17, -v1
	v_lshl_or_b32 v10, v10, 9, 0x7c00
	v_cndmask_b32_e64 v6, 0, 1, vcc_lo
	v_cmp_gt_i32_e32 vcc_lo, 31, v14
	v_and_b32_e32 v15, 0xffff, v15
	v_cvt_f32_f16_e32 v1, v1
	v_add_nc_u32_e32 v16, 0xfffffc10, v25
	v_and_or_b32 v6, 0xffe, v24, v6
	v_cndmask_b32_e32 v22, 0x7c00, v22, vcc_lo
	v_sub_nc_u32_e32 v24, 0x3f1, v25
	v_cmp_ne_u32_e32 vcc_lo, v23, v18
	v_lshrrev_b32_e32 v7, 16, v7
	v_or_b32_e32 v23, 0x1000, v6
	v_lshl_or_b32 v13, v16, 12, v6
	v_med3_i32 v24, v24, 0, 13
	v_cndmask_b32_e64 v18, 0, 1, vcc_lo
	v_cmp_eq_u32_e32 vcc_lo, 0x40f, v14
	v_lshrrev_b32_e32 v17, v24, v23
	v_or_b32_e32 v18, v19, v18
	v_lshl_or_b32 v19, v21, 12, v20
	v_cndmask_b32_e32 v14, v22, v10, vcc_lo
	v_cmp_gt_i32_e32 vcc_lo, 1, v21
	v_lshrrev_b32_e32 v22, 16, v11
	v_mul_f64 v[10:11], v[3:4], s[6:7]
	v_cvt_f64_f32_e32 v[3:4], v1
	v_cndmask_b32_e32 v18, v19, v18, vcc_lo
	v_lshlrev_b32_e32 v19, v24, v17
	v_and_or_b32 v14, 0x8000, v22, v14
	v_and_b32_e32 v1, 7, v18
	v_cmp_ne_u32_e32 vcc_lo, v19, v23
	v_lshl_or_b32 v19, v14, 16, v15
	v_cmp_eq_u32_e64 s0, 3, v1
	v_cndmask_b32_e64 v0, 0, 1, vcc_lo
	v_cmp_lt_i32_e32 vcc_lo, 5, v1
	v_lshrrev_b32_e32 v1, 2, v18
	v_or_b32_e32 v12, v17, v0
	s_or_b32 vcc_lo, s0, vcc_lo
	v_add_co_ci_u32_e32 v14, vcc_lo, 0, v1, vcc_lo
	v_cmp_ne_u32_e32 vcc_lo, 0, v20
	v_and_or_b32 v10, 0x1ff, v11, v10
	ds_read2_b32 v[0:1], v214 offset0:64 offset1:172
	v_cndmask_b32_e64 v15, 0, 1, vcc_lo
	v_cmp_gt_i32_e32 vcc_lo, 1, v16
	v_lshl_or_b32 v15, v15, 9, 0x7c00
	v_cndmask_b32_e32 v17, v13, v12, vcc_lo
	v_mul_f64 v[12:13], v[3:4], s[6:7]
	v_cmp_ne_u32_e32 vcc_lo, 0, v10
	v_lshrrev_b32_e32 v4, 8, v11
	v_bfe_u32 v10, v11, 20, 11
	v_and_b32_e32 v18, 7, v17
	v_cndmask_b32_e64 v3, 0, 1, vcc_lo
	v_cmp_gt_i32_e32 vcc_lo, 31, v21
	v_cmp_eq_u32_e64 s0, 3, v18
	s_waitcnt lgkmcnt(0)
	v_lshrrev_b32_e32 v23, 16, v0
	v_and_or_b32 v20, 0xffe, v4, v3
	v_sub_nc_u32_e32 v3, 0x3f1, v10
	v_cndmask_b32_e32 v14, 0x7c00, v14, vcc_lo
	v_add_co_u32 v8, vcc_lo, v8, s3
	v_add_co_ci_u32_e32 v9, vcc_lo, s2, v9, vcc_lo
	v_or_b32_e32 v22, 0x1000, v20
	v_med3_i32 v3, v3, 0, 13
	v_cmp_eq_u32_e32 vcc_lo, 0x40f, v21
	v_mul_f16_sdwa v4, v100, v23 dst_sel:DWORD dst_unused:UNUSED_PAD src0_sel:WORD_1 src1_sel:DWORD
	v_and_or_b32 v12, 0x1ff, v13, v12
	v_add_nc_u32_e32 v10, 0xfffffc10, v10
	global_store_dword v[8:9], v19, off
	v_cndmask_b32_e32 v21, v14, v15, vcc_lo
	v_lshrrev_b32_e32 v14, v3, v22
	v_cmp_lt_i32_e32 vcc_lo, 5, v18
	v_lshrrev_b32_e32 v15, 2, v17
	v_fmac_f16_e32 v4, v100, v0
	v_cmp_ne_u32_e64 s1, 0, v12
	v_lshlrev_b32_e32 v17, v3, v14
	s_or_b32 vcc_lo, s0, vcc_lo
	v_lshrrev_b32_e32 v12, 8, v13
	v_add_co_ci_u32_e32 v15, vcc_lo, 0, v15, vcc_lo
	v_cndmask_b32_e64 v3, 0, 1, s1
	v_bfe_u32 v18, v13, 20, 11
	v_cvt_f32_f16_e32 v4, v4
	v_cmp_ne_u32_e32 vcc_lo, v17, v22
	v_mul_f16_sdwa v0, v100, v0 dst_sel:DWORD dst_unused:UNUSED_PAD src0_sel:WORD_1 src1_sel:DWORD
	v_and_or_b32 v12, 0xffe, v12, v3
	v_sub_nc_u32_e32 v24, 0x3f1, v18
	v_cvt_f64_f32_e32 v[3:4], v4
	v_cndmask_b32_e64 v17, 0, 1, vcc_lo
	v_cmp_ne_u32_e32 vcc_lo, 0, v6
	v_or_b32_e32 v22, 0x1000, v12
	v_med3_i32 v24, v24, 0, 13
	v_fma_f16 v0, v100, v23, -v0
	v_or_b32_e32 v14, v14, v17
	v_cndmask_b32_e64 v6, 0, 1, vcc_lo
	v_cmp_gt_i32_e32 vcc_lo, 31, v16
	v_lshl_or_b32 v17, v10, 12, v20
	v_lshrrev_b32_e32 v25, v24, v22
	v_cvt_f32_f16_e32 v0, v0
	v_lshl_or_b32 v6, v6, 9, 0x7c00
	v_cndmask_b32_e32 v15, 0x7c00, v15, vcc_lo
	v_cmp_gt_i32_e32 vcc_lo, 1, v10
	v_add_nc_u32_e32 v18, 0xfffffc10, v18
	v_cmp_eq_u32_e64 s1, 0x40f, v10
	v_lshrrev_b32_e32 v13, 16, v13
	v_cndmask_b32_e32 v17, v17, v14, vcc_lo
	v_lshlrev_b32_e32 v14, v24, v25
	v_cmp_eq_u32_e32 vcc_lo, 0x40f, v16
	v_lshrrev_b32_e32 v24, 16, v5
	v_and_b32_e32 v23, 7, v17
	v_cmp_ne_u32_e64 s0, v14, v22
	v_cndmask_b32_e32 v16, v15, v6, vcc_lo
	v_mul_f64 v[5:6], v[3:4], s[6:7]
	v_lshrrev_b32_e32 v4, 2, v17
	v_cmp_lt_i32_e32 vcc_lo, 5, v23
	v_cndmask_b32_e64 v3, 0, 1, s0
	v_cmp_eq_u32_e64 s0, 3, v23
	v_cvt_f64_f32_e32 v[14:15], v0
	v_and_or_b32 v0, 0x8000, v24, v21
	v_lshl_or_b32 v17, v18, 12, v12
	v_or_b32_e32 v3, v25, v3
	s_or_b32 vcc_lo, s0, vcc_lo
	v_and_or_b32 v7, 0x8000, v7, v16
	v_add_co_ci_u32_e32 v21, vcc_lo, 0, v4, vcc_lo
	v_cmp_ne_u32_e32 vcc_lo, 0, v20
	v_and_b32_e32 v0, 0xffff, v0
	v_cndmask_b32_e64 v20, 0, 1, vcc_lo
	v_cmp_gt_i32_e32 vcc_lo, 1, v18
	v_lshl_or_b32 v0, v7, 16, v0
	v_and_or_b32 v5, 0x1ff, v6, v5
	v_bfe_u32 v22, v6, 20, 11
	v_cndmask_b32_e32 v16, v17, v3, vcc_lo
	ds_read2_b32 v[3:4], v93 offset0:120 offset1:228
	v_cmp_gt_i32_e32 vcc_lo, 31, v10
	v_mul_f64 v[14:15], v[14:15], s[6:7]
	v_lshl_or_b32 v20, v20, 9, 0x7c00
	v_and_b32_e32 v19, 7, v16
	v_lshrrev_b32_e32 v10, 2, v16
	v_cndmask_b32_e32 v17, 0x7c00, v21, vcc_lo
	v_cmp_ne_u32_e32 vcc_lo, 0, v5
	v_lshrrev_b32_e32 v21, 8, v6
	v_cmp_eq_u32_e64 s0, 3, v19
	v_sub_nc_u32_e32 v7, 0x3f1, v22
	v_cndmask_b32_e64 v17, v17, v20, s1
	v_cndmask_b32_e64 v5, 0, 1, vcc_lo
	v_cmp_lt_i32_e32 vcc_lo, 5, v19
	v_lshrrev_b32_e32 v6, 16, v6
	v_med3_i32 v7, v7, 0, 13
	v_and_or_b32 v5, 0xffe, v21, v5
	s_or_b32 vcc_lo, s0, vcc_lo
	v_add_co_ci_u32_e32 v10, vcc_lo, 0, v10, vcc_lo
	v_cmp_ne_u32_e32 vcc_lo, 0, v12
	s_waitcnt lgkmcnt(0)
	v_lshrrev_b32_e32 v19, 16, v3
	v_or_b32_e32 v16, 0x1000, v5
	v_lshrrev_b32_e32 v24, 8, v15
	v_bfe_u32 v25, v15, 20, 11
	v_cndmask_b32_e64 v12, 0, 1, vcc_lo
	v_cmp_gt_i32_e32 vcc_lo, 31, v18
	v_mul_f16_sdwa v20, v99, v19 dst_sel:DWORD dst_unused:UNUSED_PAD src0_sel:WORD_1 src1_sel:DWORD
	v_lshrrev_b32_e32 v21, v7, v16
	v_lshl_or_b32 v12, v12, 9, 0x7c00
	v_cndmask_b32_e32 v23, 0x7c00, v10, vcc_lo
	v_and_or_b32 v10, 0x1ff, v15, v14
	v_fmac_f16_e32 v20, v99, v3
	v_lshrrev_b32_e32 v14, 16, v11
	v_lshlrev_b32_e32 v7, v7, v21
	v_mul_f16_sdwa v3, v99, v3 dst_sel:DWORD dst_unused:UNUSED_PAD src0_sel:WORD_1 src1_sel:DWORD
	v_cmp_ne_u32_e32 vcc_lo, 0, v10
	v_cvt_f32_f16_e32 v11, v20
	v_and_or_b32 v14, 0x8000, v14, v17
	v_lshrrev_b32_e32 v15, 16, v15
	v_fma_f16 v3, v99, v19, -v3
	v_cndmask_b32_e64 v20, 0, 1, vcc_lo
	v_cmp_eq_u32_e32 vcc_lo, 0x40f, v18
	v_cvt_f64_f32_e32 v[10:11], v11
	v_and_b32_e32 v14, 0xffff, v14
	v_cvt_f32_f16_e32 v3, v3
	v_and_or_b32 v18, 0xffe, v24, v20
	v_cndmask_b32_e32 v12, v23, v12, vcc_lo
	v_sub_nc_u32_e32 v20, 0x3f1, v25
	v_cmp_ne_u32_e32 vcc_lo, v7, v16
	v_add_nc_u32_e32 v16, 0xfffffc10, v22
	v_or_b32_e32 v17, 0x1000, v18
	v_and_or_b32 v22, 0x8000, v13, v12
	v_med3_i32 v20, v20, 0, 13
	v_cndmask_b32_e64 v7, 0, 1, vcc_lo
	v_cmp_gt_i32_e32 vcc_lo, 1, v16
	v_lshl_or_b32 v14, v22, 16, v14
	v_lshrrev_b32_e32 v23, v20, v17
	v_or_b32_e32 v7, v21, v7
	v_lshl_or_b32 v21, v16, 12, v5
	v_lshlrev_b32_e32 v12, v20, v23
	v_cndmask_b32_e32 v19, v21, v7, vcc_lo
	v_add_co_u32 v7, vcc_lo, v8, s3
	v_mul_f64 v[10:11], v[10:11], s[6:7]
	v_add_co_ci_u32_e32 v8, vcc_lo, s2, v9, vcc_lo
	v_and_b32_e32 v20, 7, v19
	v_cmp_ne_u32_e32 vcc_lo, v12, v17
	v_lshrrev_b32_e32 v17, 2, v19
	v_cvt_f64_f32_e32 v[12:13], v3
	v_add_nc_u32_e32 v3, 0xfffffc10, v25
	v_cmp_eq_u32_e64 s0, 3, v20
	v_cndmask_b32_e64 v9, 0, 1, vcc_lo
	v_cmp_lt_i32_e32 vcc_lo, 5, v20
	global_store_dword v[7:8], v0, off
	v_lshl_or_b32 v20, v3, 12, v18
	v_or_b32_e32 v19, v23, v9
	s_or_b32 vcc_lo, s0, vcc_lo
	v_add_co_ci_u32_e32 v17, vcc_lo, 0, v17, vcc_lo
	v_cmp_ne_u32_e32 vcc_lo, 0, v5
	v_and_or_b32 v21, 0x1ff, v11, v10
	v_cndmask_b32_e64 v5, 0, 1, vcc_lo
	v_add_co_u32 v9, vcc_lo, v7, s5
	v_add_co_ci_u32_e32 v10, vcc_lo, s4, v8, vcc_lo
	v_cmp_gt_i32_e32 vcc_lo, 1, v3
	v_mul_f64 v[7:8], v[12:13], s[6:7]
	v_lshl_or_b32 v5, v5, 9, 0x7c00
	v_lshrrev_b32_e32 v13, 8, v11
	global_store_dword v[9:10], v14, off
	v_cndmask_b32_e32 v19, v20, v19, vcc_lo
	v_cmp_gt_i32_e32 vcc_lo, 31, v16
	v_bfe_u32 v20, v11, 20, 11
	v_and_b32_e32 v0, 7, v19
	v_cndmask_b32_e32 v17, 0x7c00, v17, vcc_lo
	v_cmp_ne_u32_e32 vcc_lo, 0, v21
	v_lshrrev_b32_e32 v21, 16, v2
	v_cmp_eq_u32_e64 s0, 3, v0
	v_cndmask_b32_e64 v12, 0, 1, vcc_lo
	v_cmp_eq_u32_e32 vcc_lo, 0x40f, v16
	v_and_or_b32 v16, 0xffe, v13, v12
	v_cndmask_b32_e32 v5, v17, v5, vcc_lo
	v_cmp_lt_i32_e32 vcc_lo, 5, v0
	v_sub_nc_u32_e32 v12, 0x3f1, v20
	v_mul_f16_sdwa v13, v98, v21 dst_sel:DWORD dst_unused:UNUSED_PAD src0_sel:WORD_1 src1_sel:DWORD
	v_lshrrev_b32_e32 v0, 2, v19
	v_or_b32_e32 v17, 0x1000, v16
	s_or_b32 vcc_lo, s0, vcc_lo
	v_med3_i32 v12, v12, 0, 13
	v_fmac_f16_e32 v13, v98, v2
	v_add_co_ci_u32_e32 v0, vcc_lo, 0, v0, vcc_lo
	v_cmp_ne_u32_e32 vcc_lo, 0, v18
	v_lshrrev_b32_e32 v19, v12, v17
	v_cvt_f32_f16_e32 v13, v13
	v_and_or_b32 v7, 0x1ff, v8, v7
	v_add_nc_u32_e32 v20, 0xfffffc10, v20
	v_cndmask_b32_e64 v18, 0, 1, vcc_lo
	v_cmp_gt_i32_e32 vcc_lo, 31, v3
	v_lshlrev_b32_e32 v22, v12, v19
	v_cvt_f64_f32_e32 v[12:13], v13
	v_mul_f16_sdwa v2, v98, v2 dst_sel:DWORD dst_unused:UNUSED_PAD src0_sel:WORD_1 src1_sel:DWORD
	v_lshl_or_b32 v18, v18, 9, 0x7c00
	v_cndmask_b32_e32 v0, 0x7c00, v0, vcc_lo
	v_cmp_ne_u32_e32 vcc_lo, 0, v7
	v_lshrrev_b32_e32 v23, 8, v8
	v_bfe_u32 v24, v8, 20, 11
	v_fma_f16 v21, v98, v21, -v2
	v_lshrrev_b32_e32 v8, 16, v8
	v_cndmask_b32_e64 v7, 0, 1, vcc_lo
	v_cmp_ne_u32_e32 vcc_lo, v22, v17
	v_sub_nc_u32_e32 v22, 0x3f1, v24
	v_and_or_b32 v7, 0xffe, v23, v7
	v_cndmask_b32_e64 v17, 0, 1, vcc_lo
	v_cmp_eq_u32_e32 vcc_lo, 0x40f, v3
	v_med3_i32 v22, v22, 0, 13
	v_or_b32_e32 v23, 0x1000, v7
	v_or_b32_e32 v17, v19, v17
	v_lshl_or_b32 v19, v20, 12, v16
	v_cndmask_b32_e32 v0, v0, v18, vcc_lo
	v_cmp_gt_i32_e32 vcc_lo, 1, v20
	v_mul_f64 v[2:3], v[12:13], s[6:7]
	v_cvt_f32_f16_e32 v12, v21
	v_and_or_b32 v18, 0x8000, v6, v5
	v_and_or_b32 v0, 0x8000, v15, v0
	v_cndmask_b32_e32 v13, v19, v17, vcc_lo
	v_lshrrev_b32_e32 v17, v22, v23
	v_cvt_f64_f32_e32 v[5:6], v12
	v_add_nc_u32_e32 v15, 0xfffffc10, v24
	v_lshrrev_b32_e32 v21, 16, v1
	v_and_b32_e32 v12, 7, v13
	v_lshlrev_b32_e32 v19, v22, v17
	v_and_b32_e32 v14, 0xffff, v18
	v_mul_f16_sdwa v24, v106, v4 dst_sel:DWORD dst_unused:UNUSED_PAD src0_sel:WORD_1 src1_sel:DWORD
	v_cmp_lt_i32_e32 vcc_lo, 5, v12
	v_cmp_eq_u32_e64 s0, 3, v12
	v_lshrrev_b32_e32 v12, 2, v13
	v_cmp_ne_u32_e64 s1, v19, v23
	s_or_b32 vcc_lo, s0, vcc_lo
	v_add_co_ci_u32_e32 v12, vcc_lo, 0, v12, vcc_lo
	v_cmp_ne_u32_e32 vcc_lo, 0, v16
	v_cndmask_b32_e64 v13, 0, 1, s1
	v_and_or_b32 v2, 0x1ff, v3, v2
	v_bfe_u32 v18, v3, 20, 11
	v_mul_f64 v[5:6], v[5:6], s[6:7]
	v_cndmask_b32_e64 v16, 0, 1, vcc_lo
	v_cmp_gt_i32_e32 vcc_lo, 31, v20
	v_or_b32_e32 v13, v17, v13
	v_lshl_or_b32 v17, v15, 12, v7
	v_lshl_or_b32 v16, v16, 9, 0x7c00
	v_cndmask_b32_e32 v12, 0x7c00, v12, vcc_lo
	v_cmp_gt_i32_e32 vcc_lo, 1, v15
	v_cndmask_b32_e32 v13, v17, v13, vcc_lo
	v_cmp_ne_u32_e32 vcc_lo, 0, v2
	v_lshrrev_b32_e32 v17, 8, v3
	v_and_b32_e32 v19, 7, v13
	v_cndmask_b32_e64 v2, 0, 1, vcc_lo
	v_cmp_eq_u32_e32 vcc_lo, 0x40f, v20
	v_and_or_b32 v5, 0x1ff, v6, v5
	v_cmp_eq_u32_e64 s0, 3, v19
	v_and_or_b32 v2, 0xffe, v17, v2
	v_cndmask_b32_e32 v16, v12, v16, vcc_lo
	v_mul_f16_sdwa v12, v96, v21 dst_sel:DWORD dst_unused:UNUSED_PAD src0_sel:WORD_1 src1_sel:DWORD
	v_cmp_lt_i32_e32 vcc_lo, 5, v19
	v_lshrrev_b32_e32 v19, 16, v11
	v_lshrrev_b32_e32 v11, 2, v13
	v_sub_nc_u32_e32 v17, 0x3f1, v18
	v_fmac_f16_e32 v12, v96, v1
	s_or_b32 vcc_lo, s0, vcc_lo
	v_or_b32_e32 v20, 0x1000, v2
	v_add_co_ci_u32_e32 v22, vcc_lo, 0, v11, vcc_lo
	v_cvt_f32_f16_e32 v12, v12
	v_med3_i32 v17, v17, 0, 13
	v_cmp_gt_i32_e32 vcc_lo, 31, v15
	v_and_or_b32 v16, 0x8000, v19, v16
	v_bfe_u32 v23, v6, 20, 11
	v_cvt_f64_f32_e32 v[11:12], v12
	v_lshrrev_b32_e32 v13, v17, v20
	v_cndmask_b32_e32 v19, 0x7c00, v22, vcc_lo
	v_cmp_ne_u32_e32 vcc_lo, 0, v5
	v_lshrrev_b32_e32 v22, 8, v6
	v_add_nc_u32_e32 v18, 0xfffffc10, v18
	v_lshlrev_b32_e32 v17, v17, v13
	v_mul_f16_sdwa v1, v96, v1 dst_sel:DWORD dst_unused:UNUSED_PAD src0_sel:WORD_1 src1_sel:DWORD
	v_cndmask_b32_e64 v5, 0, 1, vcc_lo
	v_cmp_ne_u32_e32 vcc_lo, 0, v7
	v_and_b32_e32 v16, 0xffff, v16
	v_cmp_eq_u32_e64 s1, 0x40f, v18
	v_fma_f16 v1, v96, v21, -v1
	v_and_or_b32 v5, 0xffe, v22, v5
	v_cndmask_b32_e64 v7, 0, 1, vcc_lo
	v_cmp_ne_u32_e32 vcc_lo, v17, v20
	v_sub_nc_u32_e32 v20, 0x3f1, v23
	v_or_b32_e32 v22, 0x1000, v5
	v_lshl_or_b32 v7, v7, 9, 0x7c00
	v_cndmask_b32_e64 v17, 0, 1, vcc_lo
	v_med3_i32 v20, v20, 0, 13
	v_cmp_eq_u32_e32 vcc_lo, 0x40f, v15
	v_mul_f64 v[11:12], v[11:12], s[6:7]
	v_or_b32_e32 v13, v13, v17
	v_lshl_or_b32 v17, v18, 12, v2
	v_cndmask_b32_e32 v7, v19, v7, vcc_lo
	v_cmp_gt_i32_e32 vcc_lo, 1, v18
	v_lshrrev_b32_e32 v15, v20, v22
	v_cndmask_b32_e32 v13, v17, v13, vcc_lo
	v_lshlrev_b32_e32 v19, v20, v15
	v_lshl_or_b32 v17, v0, 16, v14
	v_cvt_f32_f16_e32 v0, v1
	v_and_or_b32 v14, 0x8000, v8, v7
	v_and_b32_e32 v20, 7, v13
	v_cmp_ne_u32_e64 s0, v19, v22
	v_add_co_u32 v7, vcc_lo, v9, s3
	v_cvt_f64_f32_e32 v[0:1], v0
	v_add_co_ci_u32_e32 v8, vcc_lo, s2, v10, vcc_lo
	v_cmp_lt_i32_e32 vcc_lo, 5, v20
	v_cndmask_b32_e64 v9, 0, 1, s0
	v_cmp_eq_u32_e64 s0, 3, v20
	v_and_or_b32 v10, 0x1ff, v12, v11
	v_lshrrev_b32_e32 v11, 2, v13
	v_add_nc_u32_e32 v19, 0xfffffc10, v23
	v_or_b32_e32 v9, v15, v9
	s_or_b32 vcc_lo, s0, vcc_lo
	v_lshrrev_b32_e32 v20, 8, v12
	v_add_co_ci_u32_e32 v11, vcc_lo, 0, v11, vcc_lo
	v_cmp_ne_u32_e32 vcc_lo, 0, v10
	v_lshl_or_b32 v13, v19, 12, v5
	v_bfe_u32 v21, v12, 20, 11
	v_lshl_or_b32 v16, v14, 16, v16
	global_store_dword v[7:8], v17, off
	v_cndmask_b32_e64 v15, 0, 1, vcc_lo
	v_cmp_gt_i32_e32 vcc_lo, 1, v19
	v_lshrrev_b32_e32 v12, 16, v12
	v_and_or_b32 v15, 0xffe, v20, v15
	v_cndmask_b32_e32 v13, v13, v9, vcc_lo
	v_mul_f64 v[9:10], v[0:1], s[6:7]
	v_sub_nc_u32_e32 v0, 0x3f1, v21
	v_cmp_ne_u32_e32 vcc_lo, 0, v2
	v_or_b32_e32 v20, 0x1000, v15
	v_and_b32_e32 v2, 7, v13
	v_med3_i32 v0, v0, 0, 13
	v_cndmask_b32_e64 v1, 0, 1, vcc_lo
	v_cmp_gt_i32_e32 vcc_lo, 31, v18
	v_cmp_eq_u32_e64 s0, 3, v2
	v_lshrrev_b32_e32 v18, 16, v3
	v_lshrrev_b32_e32 v14, v0, v20
	v_lshl_or_b32 v1, v1, 9, 0x7c00
	v_cndmask_b32_e32 v11, 0x7c00, v11, vcc_lo
	v_cmp_lt_i32_e32 vcc_lo, 5, v2
	v_lshrrev_b32_e32 v2, 16, v4
	v_lshlrev_b32_e32 v0, v0, v14
	v_cndmask_b32_e64 v11, v11, v1, s1
	v_lshrrev_b32_e32 v1, 2, v13
	v_mul_f16_sdwa v3, v106, v2 dst_sel:DWORD dst_unused:UNUSED_PAD src0_sel:WORD_1 src1_sel:DWORD
	v_cmp_ne_u32_e64 s1, v0, v20
	v_and_or_b32 v9, 0x1ff, v10, v9
	s_or_b32 vcc_lo, s0, vcc_lo
	v_add_nc_u32_e32 v20, 0xfffffc10, v21
	v_add_co_ci_u32_e32 v13, vcc_lo, 0, v1, vcc_lo
	v_cndmask_b32_e64 v0, 0, 1, s1
	v_fmac_f16_e32 v3, v106, v4
	v_cmp_ne_u32_e32 vcc_lo, 0, v9
	v_lshrrev_b32_e32 v9, 8, v10
	v_bfe_u32 v22, v10, 20, 11
	v_or_b32_e32 v14, v14, v0
	v_cvt_f32_f16_e32 v0, v3
	v_cndmask_b32_e64 v3, 0, 1, vcc_lo
	v_cmp_ne_u32_e32 vcc_lo, 0, v5
	v_lshl_or_b32 v21, v20, 12, v15
	v_fma_f16 v2, v106, v2, -v24
	v_cvt_f64_f32_e32 v[0:1], v0
	v_and_or_b32 v9, 0xffe, v9, v3
	v_cndmask_b32_e64 v5, 0, 1, vcc_lo
	v_cmp_gt_i32_e32 vcc_lo, 31, v19
	v_sub_nc_u32_e32 v3, 0x3f1, v22
	v_cvt_f32_f16_e32 v2, v2
	v_lshrrev_b32_e32 v24, 16, v6
	v_lshl_or_b32 v5, v5, 9, 0x7c00
	v_cndmask_b32_e32 v13, 0x7c00, v13, vcc_lo
	v_cmp_gt_i32_e32 vcc_lo, 1, v20
	v_med3_i32 v23, v3, 0, 13
	v_and_or_b32 v11, 0x8000, v18, v11
	v_lshrrev_b32_e32 v10, 16, v10
	v_cndmask_b32_e32 v14, v21, v14, vcc_lo
	v_add_co_u32 v3, vcc_lo, v7, s3
	v_or_b32_e32 v21, 0x1000, v9
	v_add_co_ci_u32_e32 v4, vcc_lo, s2, v8, vcc_lo
	v_and_b32_e32 v26, 7, v14
	v_cmp_eq_u32_e32 vcc_lo, 0x40f, v19
	v_lshrrev_b32_e32 v25, v23, v21
	global_store_dword v[3:4], v16, off
	v_and_b32_e32 v11, 0xffff, v11
	v_cmp_eq_u32_e64 s0, 3, v26
	v_cndmask_b32_e32 v19, v13, v5, vcc_lo
	v_cmp_lt_i32_e32 vcc_lo, 5, v26
	v_mul_f64 v[5:6], v[0:1], s[6:7]
	v_lshrrev_b32_e32 v0, 2, v14
	v_lshlrev_b32_e32 v23, v23, v25
	v_cvt_f64_f32_e32 v[13:14], v2
	s_or_b32 vcc_lo, s0, vcc_lo
	v_and_or_b32 v18, 0x8000, v24, v19
	v_add_co_ci_u32_e32 v0, vcc_lo, 0, v0, vcc_lo
	v_cmp_ne_u32_e64 s1, v23, v21
	v_cmp_ne_u32_e32 vcc_lo, 0, v15
	v_add_nc_u32_e32 v21, 0xfffffc10, v22
	v_lshl_or_b32 v18, v18, 16, v11
	v_cndmask_b32_e64 v1, 0, 1, s1
	v_cndmask_b32_e64 v15, 0, 1, vcc_lo
	v_cmp_gt_i32_e32 vcc_lo, 31, v20
	v_lshl_or_b32 v2, v21, 12, v9
	v_or_b32_e32 v1, v25, v1
	v_lshl_or_b32 v15, v15, 9, 0x7c00
	v_cndmask_b32_e32 v0, 0x7c00, v0, vcc_lo
	v_cmp_gt_i32_e32 vcc_lo, 1, v21
	v_and_or_b32 v5, 0x1ff, v6, v5
	v_lshrrev_b32_e32 v7, 8, v6
	v_mul_f64 v[13:14], v[13:14], s[6:7]
	v_cndmask_b32_e32 v19, v2, v1, vcc_lo
	ds_read2_b32 v[1:2], v92 offset0:96 offset1:204
	v_cmp_eq_u32_e32 vcc_lo, 0x40f, v20
	v_cmp_ne_u32_e64 s0, 0, v5
	v_and_b32_e32 v22, 7, v19
	v_lshrrev_b32_e32 v8, 2, v19
	v_cndmask_b32_e32 v0, v0, v15, vcc_lo
	v_cndmask_b32_e64 v5, 0, 1, s0
	v_bfe_u32 v15, v6, 20, 11
	v_cmp_lt_i32_e32 vcc_lo, 5, v22
	v_cmp_eq_u32_e64 s0, 3, v22
	v_and_or_b32 v0, 0x8000, v12, v0
	v_and_or_b32 v5, 0xffe, v7, v5
	v_sub_nc_u32_e32 v7, 0x3f1, v15
	v_add_nc_u32_e32 v15, 0xfffffc10, v15
	s_or_b32 vcc_lo, s0, vcc_lo
	v_and_b32_e32 v0, 0xffff, v0
	v_add_co_ci_u32_e32 v8, vcc_lo, 0, v8, vcc_lo
	v_cmp_ne_u32_e32 vcc_lo, 0, v9
	s_waitcnt lgkmcnt(0)
	v_lshrrev_b32_e32 v16, 16, v1
	v_or_b32_e32 v17, 0x1000, v5
	v_med3_i32 v7, v7, 0, 13
	v_and_or_b32 v13, 0x1ff, v14, v13
	v_cndmask_b32_e64 v9, 0, 1, vcc_lo
	v_mul_f16_sdwa v19, v115, v16 dst_sel:DWORD dst_unused:UNUSED_PAD src0_sel:WORD_1 src1_sel:DWORD
	v_cmp_gt_i32_e32 vcc_lo, 31, v21
	v_lshrrev_b32_e32 v20, v7, v17
	v_bfe_u32 v23, v14, 20, 11
	v_lshl_or_b32 v9, v9, 9, 0x7c00
	v_fmac_f16_e32 v19, v115, v1
	v_cndmask_b32_e32 v22, 0x7c00, v8, vcc_lo
	v_cmp_ne_u32_e32 vcc_lo, 0, v13
	v_lshlrev_b32_e32 v24, v7, v20
	v_sub_nc_u32_e32 v12, 0x3f1, v23
	v_cvt_f32_f16_e32 v8, v19
	v_lshrrev_b32_e32 v19, 8, v14
	v_cndmask_b32_e64 v13, 0, 1, vcc_lo
	v_cmp_ne_u32_e32 vcc_lo, v24, v17
	v_med3_i32 v12, v12, 0, 13
	v_cvt_f64_f32_e32 v[7:8], v8
	v_mul_f16_sdwa v1, v115, v1 dst_sel:DWORD dst_unused:UNUSED_PAD src0_sel:WORD_1 src1_sel:DWORD
	v_and_or_b32 v13, 0xffe, v19, v13
	v_cndmask_b32_e64 v17, 0, 1, vcc_lo
	v_cmp_eq_u32_e32 vcc_lo, 0x40f, v21
	v_lshrrev_b32_e32 v14, 16, v14
	v_fma_f16 v1, v115, v16, -v1
	v_or_b32_e32 v19, 0x1000, v13
	v_or_b32_e32 v17, v20, v17
	v_cndmask_b32_e32 v9, v22, v9, vcc_lo
	v_lshl_or_b32 v20, v15, 12, v5
	v_cmp_gt_i32_e32 vcc_lo, 1, v15
	v_lshrrev_b32_e32 v21, v12, v19
	v_cvt_f32_f16_e32 v1, v1
	v_and_or_b32 v11, 0x8000, v10, v9
	v_add_nc_u32_e32 v16, 0xfffffc10, v23
	v_cndmask_b32_e32 v17, v20, v17, vcc_lo
	v_lshlrev_b32_e32 v9, v12, v21
	v_add_co_u32 v3, vcc_lo, v3, s5
	v_add_co_ci_u32_e32 v4, vcc_lo, s4, v4, vcc_lo
	v_and_b32_e32 v10, 7, v17
	v_cmp_ne_u32_e64 s0, v9, v19
	v_mul_f64 v[7:8], v[7:8], s[6:7]
	v_lshl_or_b32 v19, v11, 16, v0
	v_lshrrev_b32_e32 v0, 2, v17
	v_cmp_lt_i32_e32 vcc_lo, 5, v10
	v_cndmask_b32_e64 v12, 0, 1, s0
	v_cmp_eq_u32_e64 s0, 3, v10
	v_cvt_f64_f32_e32 v[9:10], v1
	global_store_dword v[3:4], v18, off
	v_or_b32_e32 v11, v21, v12
	s_or_b32 vcc_lo, s0, vcc_lo
	v_lshl_or_b32 v12, v16, 12, v13
	v_add_co_ci_u32_e32 v17, vcc_lo, 0, v0, vcc_lo
	v_cmp_ne_u32_e32 vcc_lo, 0, v5
	ds_read2_b32 v[0:1], v213 offset0:24 offset1:132
	v_cndmask_b32_e64 v5, 0, 1, vcc_lo
	v_cmp_gt_i32_e32 vcc_lo, 1, v16
	v_and_or_b32 v7, 0x1ff, v8, v7
	v_bfe_u32 v23, v8, 20, 11
	v_lshl_or_b32 v5, v5, 9, 0x7c00
	v_cndmask_b32_e32 v20, v12, v11, vcc_lo
	v_cmp_gt_i32_e32 vcc_lo, 31, v15
	v_lshrrev_b32_e32 v22, 8, v8
	v_mul_f64 v[9:10], v[9:10], s[6:7]
	v_lshrrev_b32_e32 v8, 16, v8
	v_and_b32_e32 v21, 7, v20
	v_cndmask_b32_e32 v17, 0x7c00, v17, vcc_lo
	v_cmp_ne_u32_e32 vcc_lo, 0, v7
	v_lshrrev_b32_e32 v20, 2, v20
	v_cmp_eq_u32_e64 s0, 3, v21
	v_cndmask_b32_e64 v7, 0, 1, vcc_lo
	v_add_co_u32 v11, vcc_lo, v3, s3
	v_add_co_ci_u32_e32 v12, vcc_lo, s2, v4, vcc_lo
	v_cmp_eq_u32_e32 vcc_lo, 0x40f, v15
	v_and_or_b32 v7, 0xffe, v22, v7
	global_store_dword v[11:12], v19, off
	v_cndmask_b32_e32 v15, v17, v5, vcc_lo
	v_cmp_lt_i32_e32 vcc_lo, 5, v21
	v_sub_nc_u32_e32 v5, 0x3f1, v23
	s_waitcnt lgkmcnt(0)
	v_lshrrev_b32_e32 v17, 16, v0
	v_or_b32_e32 v21, 0x1000, v7
	v_and_or_b32 v9, 0x1ff, v10, v9
	s_or_b32 vcc_lo, s0, vcc_lo
	v_med3_i32 v24, v5, 0, 13
	v_add_co_ci_u32_e32 v5, vcc_lo, 0, v20, vcc_lo
	v_cmp_ne_u32_e32 vcc_lo, 0, v13
	v_mul_f16_sdwa v22, v163, v17 dst_sel:DWORD dst_unused:UNUSED_PAD src0_sel:WORD_1 src1_sel:DWORD
	v_lshrrev_b32_e32 v20, 16, v6
	v_lshrrev_b32_e32 v13, v24, v21
	v_cndmask_b32_e64 v6, 0, 1, vcc_lo
	v_cmp_gt_i32_e32 vcc_lo, 31, v16
	v_fmac_f16_e32 v22, v163, v0
	v_and_or_b32 v15, 0x8000, v20, v15
	v_lshrrev_b32_e32 v20, 8, v10
	v_lshl_or_b32 v26, v6, 9, 0x7c00
	v_cndmask_b32_e32 v25, 0x7c00, v5, vcc_lo
	v_cmp_eq_u32_e32 vcc_lo, 0x40f, v16
	v_cvt_f32_f16_e32 v22, v22
	v_mul_f16_sdwa v0, v163, v0 dst_sel:DWORD dst_unused:UNUSED_PAD src0_sel:WORD_1 src1_sel:DWORD
	v_and_b32_e32 v15, 0xffff, v15
	v_cndmask_b32_e32 v16, v25, v26, vcc_lo
	v_cmp_ne_u32_e32 vcc_lo, 0, v9
	v_cvt_f64_f32_e32 v[5:6], v22
	v_lshlrev_b32_e32 v22, v24, v13
	v_bfe_u32 v24, v10, 20, 11
	v_and_or_b32 v14, 0x8000, v14, v16
	v_cndmask_b32_e64 v9, 0, 1, vcc_lo
	v_fma_f16 v0, v163, v17, -v0
	v_cmp_ne_u32_e32 vcc_lo, v22, v21
	v_add_nc_u32_e32 v18, 0xfffffc10, v24
	v_add_nc_u32_e32 v22, 0xfffffc10, v23
	v_and_or_b32 v9, 0xffe, v20, v9
	v_sub_nc_u32_e32 v20, 0x3f1, v24
	buffer_load_dword v24, off, s[20:23], 0 offset:12 ; 4-byte Folded Reload
	v_cndmask_b32_e64 v21, 0, 1, vcc_lo
	v_cmp_gt_i32_e32 vcc_lo, 1, v22
	v_or_b32_e32 v23, 0x1000, v9
	v_med3_i32 v20, v20, 0, 13
	v_lshl_or_b32 v17, v14, 16, v15
	v_or_b32_e32 v13, v13, v21
	v_lshl_or_b32 v21, v22, 12, v7
	v_cvt_f32_f16_e32 v0, v0
	v_lshrrev_b32_e32 v3, v20, v23
	v_lshl_or_b32 v16, v18, 12, v9
	v_mul_f64 v[5:6], v[5:6], s[6:7]
	v_cndmask_b32_e32 v13, v21, v13, vcc_lo
	v_lshrrev_b32_e32 v10, 16, v10
	v_lshlrev_b32_e32 v14, v20, v3
	v_and_b32_e32 v4, 7, v13
	v_cmp_ne_u32_e64 s1, v14, v23
	v_cmp_lt_i32_e32 vcc_lo, 5, v4
	v_cmp_eq_u32_e64 s0, 3, v4
	v_lshrrev_b32_e32 v4, 2, v13
	v_cvt_f64_f32_e32 v[13:14], v0
	v_cndmask_b32_e64 v15, 0, 1, s1
	v_cmp_eq_u32_e64 s1, 0x40f, v22
	s_or_b32 vcc_lo, s0, vcc_lo
	v_add_co_ci_u32_e32 v0, vcc_lo, 0, v4, vcc_lo
	v_cmp_ne_u32_e32 vcc_lo, 0, v7
	v_or_b32_e32 v15, v3, v15
	ds_read2_b32 v[3:4], v91 offset0:80 offset1:188
	v_and_or_b32 v5, 0x1ff, v6, v5
	v_bfe_u32 v19, v6, 20, 11
	v_cndmask_b32_e64 v7, 0, 1, vcc_lo
	v_add_co_u32 v11, vcc_lo, v11, s3
	v_add_co_ci_u32_e32 v12, vcc_lo, s2, v12, vcc_lo
	v_cmp_gt_i32_e32 vcc_lo, 1, v18
	v_lshl_or_b32 v7, v7, 9, 0x7c00
	global_store_dword v[11:12], v17, off
	v_cndmask_b32_e32 v15, v16, v15, vcc_lo
	v_cmp_gt_i32_e32 vcc_lo, 31, v22
	v_lshrrev_b32_e32 v16, 8, v6
	v_mul_f64 v[13:14], v[13:14], s[6:7]
	v_and_b32_e32 v20, 7, v15
	v_cndmask_b32_e32 v0, 0x7c00, v0, vcc_lo
	v_cmp_ne_u32_e32 vcc_lo, 0, v5
	s_waitcnt lgkmcnt(0)
	v_lshrrev_b32_e32 v21, 16, v3
	v_cmp_eq_u32_e64 s0, 3, v20
	v_cndmask_b32_e64 v0, v0, v7, s1
	v_cndmask_b32_e64 v5, 0, 1, vcc_lo
	v_cmp_lt_i32_e32 vcc_lo, 5, v20
	v_lshrrev_b32_e32 v7, 2, v15
	v_and_or_b32 v0, 0x8000, v8, v0
	v_and_or_b32 v5, 0xffe, v16, v5
	v_sub_nc_u32_e32 v16, 0x3f1, v19
	s_or_b32 vcc_lo, s0, vcc_lo
	v_add_nc_u32_e32 v19, 0xfffffc10, v19
	v_add_co_ci_u32_e32 v7, vcc_lo, 0, v7, vcc_lo
	v_or_b32_e32 v20, 0x1000, v5
	v_med3_i32 v16, v16, 0, 13
	v_cmp_ne_u32_e32 vcc_lo, 0, v9
	v_and_or_b32 v13, 0x1ff, v14, v13
	v_and_b32_e32 v0, 0xffff, v0
	v_lshrrev_b32_e32 v22, v16, v20
	v_cndmask_b32_e64 v9, 0, 1, vcc_lo
	v_cmp_gt_i32_e32 vcc_lo, 31, v18
	v_lshl_or_b32 v9, v9, 9, 0x7c00
	v_cndmask_b32_e32 v7, 0x7c00, v7, vcc_lo
	s_waitcnt vmcnt(0)
	v_mul_f16_sdwa v23, v24, v21 dst_sel:DWORD dst_unused:UNUSED_PAD src0_sel:WORD_1 src1_sel:DWORD
	v_mov_b32_e32 v25, v24
	v_fmac_f16_e32 v23, v24, v3
	v_bfe_u32 v24, v14, 20, 11
	v_mul_f16_sdwa v3, v25, v3 dst_sel:DWORD dst_unused:UNUSED_PAD src0_sel:WORD_1 src1_sel:DWORD
	v_cvt_f32_f16_e32 v15, v23
	v_lshlrev_b32_e32 v23, v16, v22
	v_fma_f16 v3, v25, v21, -v3
	v_lshrrev_b32_e32 v21, 16, v2
	v_cvt_f64_f32_e32 v[15:16], v15
	v_cmp_ne_u32_e32 vcc_lo, v23, v20
	v_lshrrev_b32_e32 v23, 8, v14
	v_cvt_f32_f16_e32 v3, v3
	v_lshrrev_b32_e32 v14, 16, v14
	v_cndmask_b32_e64 v20, 0, 1, vcc_lo
	v_cmp_ne_u32_e32 vcc_lo, 0, v13
	v_or_b32_e32 v20, v22, v20
	v_cndmask_b32_e64 v13, 0, 1, vcc_lo
	v_cmp_eq_u32_e32 vcc_lo, 0x40f, v18
	v_lshl_or_b32 v22, v19, 12, v5
	v_and_or_b32 v13, 0xffe, v23, v13
	v_cndmask_b32_e32 v9, v7, v9, vcc_lo
	v_cmp_gt_i32_e32 vcc_lo, 1, v19
	v_sub_nc_u32_e32 v23, 0x3f1, v24
	v_mul_f64 v[7:8], v[15:16], s[6:7]
	v_and_or_b32 v9, 0x8000, v10, v9
	v_cndmask_b32_e32 v18, v22, v20, vcc_lo
	v_or_b32_e32 v20, 0x1000, v13
	v_med3_i32 v22, v23, 0, 13
	v_lshl_or_b32 v0, v9, 16, v0
	v_and_b32_e32 v10, 7, v18
	v_lshrrev_b32_e32 v17, 2, v18
	v_add_nc_u32_e32 v18, 0xfffffc10, v24
	buffer_load_dword v24, off, s[20:23], 0 offset:8 ; 4-byte Folded Reload
	v_lshrrev_b32_e32 v15, v22, v20
	v_cmp_lt_i32_e32 vcc_lo, 5, v10
	v_cmp_eq_u32_e64 s0, 3, v10
	v_cvt_f64_f32_e32 v[9:10], v3
	v_lshlrev_b32_e32 v16, v22, v15
	s_or_b32 vcc_lo, s0, vcc_lo
	v_add_co_ci_u32_e32 v3, vcc_lo, 0, v17, vcc_lo
	v_cmp_ne_u32_e64 s1, v16, v20
	v_cmp_ne_u32_e32 vcc_lo, 0, v5
	v_and_or_b32 v7, 0x1ff, v8, v7
	v_bfe_u32 v17, v8, 20, 11
	v_cndmask_b32_e64 v16, 0, 1, s1
	v_cndmask_b32_e64 v5, 0, 1, vcc_lo
	v_cmp_gt_i32_e32 vcc_lo, 1, v18
	v_or_b32_e32 v15, v15, v16
	v_lshl_or_b32 v16, v18, 12, v13
	v_lshl_or_b32 v5, v5, 9, 0x7c00
	v_mul_f64 v[9:10], v[9:10], s[6:7]
	v_cndmask_b32_e32 v15, v16, v15, vcc_lo
	v_cmp_ne_u32_e32 vcc_lo, 0, v7
	v_lshrrev_b32_e32 v16, 8, v8
	v_and_b32_e32 v20, 7, v15
	v_cndmask_b32_e64 v7, 0, 1, vcc_lo
	v_cmp_gt_i32_e32 vcc_lo, 31, v19
	v_lshrrev_b32_e32 v15, 2, v15
	v_cmp_eq_u32_e64 s0, 3, v20
	v_and_or_b32 v7, 0xffe, v16, v7
	v_cndmask_b32_e32 v3, 0x7c00, v3, vcc_lo
	v_cmp_lt_i32_e32 vcc_lo, 5, v20
	v_sub_nc_u32_e32 v16, 0x3f1, v17
	v_add_nc_u32_e32 v17, 0xfffffc10, v17
	v_or_b32_e32 v23, 0x1000, v7
	s_or_b32 vcc_lo, s0, vcc_lo
	v_med3_i32 v16, v16, 0, 13
	v_and_or_b32 v9, 0x1ff, v10, v9
	v_lshrrev_b32_e32 v20, v16, v23
	v_lshlrev_b32_e32 v25, v16, v20
	s_waitcnt vmcnt(0)
	v_mul_f16_sdwa v22, v24, v21 dst_sel:DWORD dst_unused:UNUSED_PAD src0_sel:WORD_1 src1_sel:DWORD
	v_mov_b32_e32 v26, v24
	v_fmac_f16_e32 v22, v24, v2
	v_add_co_ci_u32_e32 v24, vcc_lo, 0, v15, vcc_lo
	v_add_co_u32 v11, vcc_lo, v11, s5
	v_add_co_ci_u32_e32 v12, vcc_lo, s4, v12, vcc_lo
	v_cmp_ne_u32_e32 vcc_lo, 0, v13
	v_cvt_f32_f16_e32 v22, v22
	v_mul_f16_sdwa v2, v26, v2 dst_sel:DWORD dst_unused:UNUSED_PAD src0_sel:WORD_1 src1_sel:DWORD
	global_store_dword v[11:12], v0, off
	v_cndmask_b32_e64 v13, 0, 1, vcc_lo
	v_cmp_eq_u32_e32 vcc_lo, 0x40f, v19
	v_cvt_f64_f32_e32 v[15:16], v22
	v_lshrrev_b32_e32 v22, 16, v6
	v_fma_f16 v2, v26, v21, -v2
	v_lshl_or_b32 v13, v13, 9, 0x7c00
	v_cndmask_b32_e32 v3, v3, v5, vcc_lo
	v_cmp_gt_i32_e32 vcc_lo, 31, v18
	v_lshrrev_b32_e32 v21, 16, v1
	v_and_or_b32 v3, 0x8000, v22, v3
	v_cndmask_b32_e32 v5, 0x7c00, v24, vcc_lo
	buffer_load_dword v24, off, s[20:23], 0 offset:4 ; 4-byte Folded Reload
	v_cmp_ne_u32_e32 vcc_lo, v25, v23
	v_and_b32_e32 v3, 0xffff, v3
	v_cndmask_b32_e64 v19, 0, 1, vcc_lo
	v_cmp_eq_u32_e32 vcc_lo, 0x40f, v18
	v_or_b32_e32 v18, v20, v19
	v_cndmask_b32_e32 v13, v5, v13, vcc_lo
	v_cmp_ne_u32_e32 vcc_lo, 0, v9
	v_mul_f64 v[5:6], v[15:16], s[6:7]
	v_lshrrev_b32_e32 v19, 8, v10
	v_bfe_u32 v20, v10, 20, 11
	v_and_or_b32 v13, 0x8000, v14, v13
	v_cndmask_b32_e64 v9, 0, 1, vcc_lo
	v_lshl_or_b32 v15, v17, 12, v7
	v_cmp_gt_i32_e32 vcc_lo, 1, v17
	v_sub_nc_u32_e32 v16, 0x3f1, v20
	v_lshl_or_b32 v0, v13, 16, v3
	v_and_or_b32 v9, 0xffe, v19, v9
	v_add_nc_u32_e32 v20, 0xfffffc10, v20
	v_cndmask_b32_e32 v15, v15, v18, vcc_lo
	v_med3_i32 v16, v16, 0, 13
	v_lshrrev_b32_e32 v10, 16, v10
	v_or_b32_e32 v14, 0x1000, v9
	v_and_b32_e32 v18, 7, v15
	v_lshrrev_b32_e32 v15, 2, v15
	v_lshrrev_b32_e32 v19, v16, v14
	v_cmp_lt_i32_e32 vcc_lo, 5, v18
	v_and_or_b32 v5, 0x1ff, v6, v5
	v_cmp_eq_u32_e64 s0, 3, v18
	v_lshlrev_b32_e32 v13, v16, v19
	v_cvt_f32_f16_e32 v16, v2
	v_add_co_u32 v2, s1, v11, s3
	v_add_co_ci_u32_e64 v3, s1, s2, v12, s1
	v_cmp_ne_u32_e64 s1, 0, v5
	v_cvt_f64_f32_e32 v[11:12], v16
	v_lshrrev_b32_e32 v16, 8, v6
	v_bfe_u32 v18, v6, 20, 11
	s_or_b32 vcc_lo, s0, vcc_lo
	v_cndmask_b32_e64 v5, 0, 1, s1
	v_cmp_ne_u32_e64 s1, v13, v14
	v_add_co_ci_u32_e32 v15, vcc_lo, 0, v15, vcc_lo
	v_cmp_gt_i32_e32 vcc_lo, 1, v20
	v_and_or_b32 v5, 0xffe, v16, v5
	v_cndmask_b32_e64 v13, 0, 1, s1
	v_lshl_or_b32 v16, v20, 12, v9
	v_sub_nc_u32_e32 v14, 0x3f1, v18
	v_cmp_eq_u32_e64 s1, 0x40f, v17
	v_add_nc_u32_e32 v18, 0xfffffc10, v18
	v_or_b32_e32 v13, v19, v13
	v_or_b32_e32 v19, 0x1000, v5
	v_med3_i32 v14, v14, 0, 13
	v_cndmask_b32_e32 v13, v16, v13, vcc_lo
	v_cmp_ne_u32_e32 vcc_lo, 0, v7
	v_mul_f64 v[11:12], v[11:12], s[6:7]
	v_lshrrev_b32_e32 v16, v14, v19
	v_and_b32_e32 v23, 7, v13
	v_cndmask_b32_e64 v7, 0, 1, vcc_lo
	v_cmp_gt_i32_e32 vcc_lo, 31, v17
	v_lshlrev_b32_e32 v14, v14, v16
	v_lshrrev_b32_e32 v17, 2, v13
	v_cmp_eq_u32_e64 s0, 3, v23
	v_lshl_or_b32 v7, v7, 9, 0x7c00
	v_cndmask_b32_e32 v15, 0x7c00, v15, vcc_lo
	v_cmp_lt_i32_e32 vcc_lo, 5, v23
	v_cndmask_b32_e64 v15, v15, v7, s1
	v_cmp_ne_u32_e64 s1, v14, v19
	s_or_b32 vcc_lo, s0, vcc_lo
	v_cndmask_b32_e64 v19, 0, 1, s1
	v_and_or_b32 v11, 0x1ff, v12, v11
	v_or_b32_e32 v16, v16, v19
	v_lshrrev_b32_e32 v19, 16, v8
	v_and_or_b32 v15, 0x8000, v19, v15
	s_waitcnt vmcnt(0)
	v_mul_f16_sdwa v22, v24, v21 dst_sel:DWORD dst_unused:UNUSED_PAD src0_sel:WORD_1 src1_sel:DWORD
	v_mov_b32_e32 v25, v24
	v_fmac_f16_e32 v22, v24, v1
	v_mul_f16_sdwa v1, v25, v1 dst_sel:DWORD dst_unused:UNUSED_PAD src0_sel:WORD_1 src1_sel:DWORD
	v_cvt_f32_f16_e32 v7, v22
	v_fma_f16 v1, v25, v21, -v1
	v_cvt_f64_f32_e32 v[13:14], v7
	v_add_co_ci_u32_e32 v7, vcc_lo, 0, v17, vcc_lo
	v_cmp_ne_u32_e32 vcc_lo, 0, v9
	v_lshl_or_b32 v17, v18, 12, v5
	v_cvt_f32_f16_e32 v1, v1
	v_cndmask_b32_e64 v8, 0, 1, vcc_lo
	v_cmp_gt_i32_e32 vcc_lo, 1, v18
	v_lshl_or_b32 v23, v8, 9, 0x7c00
	v_cndmask_b32_e32 v9, v17, v16, vcc_lo
	v_cmp_ne_u32_e32 vcc_lo, 0, v11
	v_lshrrev_b32_e32 v16, 8, v12
	v_bfe_u32 v17, v12, 20, 11
	v_lshrrev_b32_e32 v12, 16, v12
	v_and_b32_e32 v24, 7, v9
	v_cndmask_b32_e64 v11, 0, 1, vcc_lo
	v_cmp_gt_i32_e32 vcc_lo, 31, v20
	v_lshrrev_b32_e32 v9, 2, v9
	v_cmp_eq_u32_e64 s0, 3, v24
	v_and_or_b32 v11, 0xffe, v16, v11
	v_cndmask_b32_e32 v22, 0x7c00, v7, vcc_lo
	v_cmp_eq_u32_e32 vcc_lo, 0x40f, v20
	v_mul_f64 v[7:8], v[13:14], s[6:7]
	v_sub_nc_u32_e32 v16, 0x3f1, v17
	v_or_b32_e32 v14, 0x1000, v11
	v_cndmask_b32_e32 v13, v22, v23, vcc_lo
	buffer_load_dword v22, off, s[20:23], 0 ; 4-byte Folded Reload
	v_med3_i32 v16, v16, 0, 13
	v_cmp_lt_i32_e32 vcc_lo, 5, v24
	v_and_or_b32 v10, 0x8000, v10, v13
	v_and_b32_e32 v13, 0xffff, v15
	v_lshrrev_b32_e32 v19, v16, v14
	s_or_b32 vcc_lo, s0, vcc_lo
	v_add_co_ci_u32_e32 v9, vcc_lo, 0, v9, vcc_lo
	v_lshlrev_b32_e32 v15, v16, v19
	v_cmp_ne_u32_e32 vcc_lo, 0, v5
	v_lshl_or_b32 v16, v10, 16, v13
	v_cndmask_b32_e64 v5, 0, 1, vcc_lo
	v_cmp_ne_u32_e32 vcc_lo, v15, v14
	v_and_or_b32 v7, 0x1ff, v8, v7
	v_add_nc_u32_e32 v15, 0xfffffc10, v17
	v_lshrrev_b32_e32 v17, 8, v8
	v_bfe_u32 v20, v8, 20, 11
	v_cndmask_b32_e64 v13, 0, 1, vcc_lo
	v_cmp_gt_i32_e32 vcc_lo, 31, v18
	v_lshl_or_b32 v5, v5, 9, 0x7c00
	v_lshrrev_b32_e32 v8, 16, v8
	v_or_b32_e32 v13, v19, v13
	v_cndmask_b32_e32 v14, 0x7c00, v9, vcc_lo
	v_cmp_ne_u32_e32 vcc_lo, 0, v7
	v_lshrrev_b32_e32 v7, 16, v4
	v_cvt_f64_f32_e32 v[9:10], v1
	v_lshl_or_b32 v19, v15, 12, v11
	v_cndmask_b32_e64 v1, 0, 1, vcc_lo
	v_cmp_gt_i32_e32 vcc_lo, 1, v15
	v_and_or_b32 v1, 0xffe, v17, v1
	v_sub_nc_u32_e32 v17, 0x3f1, v20
	v_cndmask_b32_e32 v19, v19, v13, vcc_lo
	v_cmp_eq_u32_e32 vcc_lo, 0x40f, v18
	v_med3_i32 v17, v17, 0, 13
	v_and_b32_e32 v23, 7, v19
	v_cndmask_b32_e32 v18, v14, v5, vcc_lo
	v_cmp_lt_i32_e32 vcc_lo, 5, v23
	v_cmp_eq_u32_e64 s0, 3, v23
	v_mul_f64 v[9:10], v[9:10], s[6:7]
	s_or_b32 vcc_lo, s0, vcc_lo
	v_and_or_b32 v9, 0x1ff, v10, v9
	s_waitcnt vmcnt(0)
	v_mul_f16_sdwa v21, v22, v7 dst_sel:DWORD dst_unused:UNUSED_PAD src0_sel:WORD_1 src1_sel:DWORD
	v_mov_b32_e32 v24, v22
	v_fmac_f16_e32 v21, v22, v4
	v_or_b32_e32 v22, 0x1000, v1
	v_mul_f16_sdwa v4, v24, v4 dst_sel:DWORD dst_unused:UNUSED_PAD src0_sel:WORD_1 src1_sel:DWORD
	v_cvt_f32_f16_e32 v13, v21
	v_lshrrev_b32_e32 v5, v17, v22
	v_lshrrev_b32_e32 v21, 16, v6
	;; [unrolled: 1-line block ×3, first 2 shown]
	v_fma_f16 v4, v24, v7, -v4
	v_cvt_f64_f32_e32 v[13:14], v13
	v_lshlrev_b32_e32 v17, v17, v5
	v_and_or_b32 v18, 0x8000, v21, v18
	v_add_co_ci_u32_e32 v6, vcc_lo, 0, v6, vcc_lo
	v_cvt_f32_f16_e32 v4, v4
	v_cmp_ne_u32_e32 vcc_lo, v17, v22
	v_add_nc_u32_e32 v17, 0xfffffc10, v20
	v_and_b32_e32 v18, 0xffff, v18
	v_cndmask_b32_e64 v7, 0, 1, vcc_lo
	v_cmp_ne_u32_e32 vcc_lo, 0, v11
	v_lshl_or_b32 v20, v17, 12, v1
	v_or_b32_e32 v19, v5, v7
	v_cndmask_b32_e64 v11, 0, 1, vcc_lo
	v_cmp_gt_i32_e32 vcc_lo, 31, v15
	v_cvt_f64_f32_e32 v[4:5], v4
	v_lshl_or_b32 v11, v11, 9, 0x7c00
	v_cndmask_b32_e32 v22, 0x7c00, v6, vcc_lo
	v_mul_f64 v[6:7], v[13:14], s[6:7]
	v_add_co_u32 v13, vcc_lo, v2, s3
	v_add_co_ci_u32_e32 v14, vcc_lo, s2, v3, vcc_lo
	v_cmp_gt_i32_e32 vcc_lo, 1, v17
	v_cndmask_b32_e32 v19, v20, v19, vcc_lo
	v_cmp_eq_u32_e32 vcc_lo, 0x40f, v15
	v_lshrrev_b32_e32 v15, 8, v10
	v_bfe_u32 v20, v10, 20, 11
	v_lshrrev_b32_e32 v10, 16, v10
	v_cndmask_b32_e32 v11, v22, v11, vcc_lo
	v_cmp_ne_u32_e32 vcc_lo, 0, v9
	v_and_b32_e32 v22, 7, v19
	v_mul_f64 v[4:5], v[4:5], s[6:7]
	v_lshrrev_b32_e32 v19, 2, v19
	v_and_or_b32 v11, 0x8000, v12, v11
	v_cndmask_b32_e64 v9, 0, 1, vcc_lo
	v_cmp_lt_i32_e32 vcc_lo, 5, v22
	v_cmp_eq_u32_e64 s0, 3, v22
	v_and_or_b32 v6, 0x1ff, v7, v6
	v_lshrrev_b32_e32 v22, 8, v7
	v_and_or_b32 v9, 0xffe, v15, v9
	v_sub_nc_u32_e32 v15, 0x3f1, v20
	s_or_b32 vcc_lo, s0, vcc_lo
	v_bfe_u32 v23, v7, 20, 11
	v_add_co_ci_u32_e32 v19, vcc_lo, 0, v19, vcc_lo
	v_or_b32_e32 v12, 0x1000, v9
	v_med3_i32 v15, v15, 0, 13
	v_cmp_ne_u32_e32 vcc_lo, 0, v6
	v_lshrrev_b32_e32 v7, 16, v7
	v_lshl_or_b32 v11, v11, 16, v18
	v_lshrrev_b32_e32 v21, v15, v12
	v_cndmask_b32_e64 v6, 0, 1, vcc_lo
	v_cmp_ne_u32_e32 vcc_lo, 0, v1
	v_and_or_b32 v4, 0x1ff, v5, v4
	v_lshrrev_b32_e32 v24, 8, v5
	v_lshlrev_b32_e32 v15, v15, v21
	v_and_or_b32 v6, 0xffe, v22, v6
	v_cndmask_b32_e64 v1, 0, 1, vcc_lo
	v_sub_nc_u32_e32 v22, 0x3f1, v23
	v_bfe_u32 v25, v5, 20, 11
	v_cmp_ne_u32_e32 vcc_lo, v15, v12
	v_add_nc_u32_e32 v15, 0xfffffc10, v20
	v_or_b32_e32 v20, 0x1000, v6
	v_med3_i32 v22, v22, 0, 13
	v_lshl_or_b32 v1, v1, 9, 0x7c00
	v_cndmask_b32_e64 v12, 0, 1, vcc_lo
	v_cmp_gt_i32_e32 vcc_lo, 31, v17
	v_lshrrev_b32_e32 v26, v22, v20
	v_or_b32_e32 v12, v21, v12
	v_cndmask_b32_e32 v19, 0x7c00, v19, vcc_lo
	v_cmp_ne_u32_e32 vcc_lo, 0, v4
	v_lshl_or_b32 v21, v15, 12, v9
	v_cndmask_b32_e64 v4, 0, 1, vcc_lo
	v_cmp_gt_i32_e32 vcc_lo, 1, v15
	v_and_or_b32 v4, 0xffe, v24, v4
	v_sub_nc_u32_e32 v24, 0x3f1, v25
	v_cndmask_b32_e32 v12, v21, v12, vcc_lo
	v_lshlrev_b32_e32 v21, v22, v26
	v_cmp_eq_u32_e32 vcc_lo, 0x40f, v17
	v_or_b32_e32 v22, 0x1000, v4
	v_med3_i32 v24, v24, 0, 13
	v_and_b32_e32 v27, 7, v12
	v_lshrrev_b32_e32 v12, 2, v12
	v_cndmask_b32_e32 v1, v19, v1, vcc_lo
	v_cmp_ne_u32_e32 vcc_lo, v21, v20
	v_add_nc_u32_e32 v19, 0xfffffc10, v23
	v_lshrrev_b32_e32 v20, v24, v22
	v_cmp_eq_u32_e64 s0, 3, v27
	v_and_or_b32 v1, 0x8000, v8, v1
	v_cndmask_b32_e64 v17, 0, 1, vcc_lo
	v_lshl_or_b32 v21, v19, 12, v6
	v_lshlrev_b32_e32 v23, v24, v20
	v_cmp_gt_i32_e64 s1, 1, v19
	v_cmp_lt_i32_e32 vcc_lo, 5, v27
	v_or_b32_e32 v17, v26, v17
	v_and_b32_e32 v1, 0xffff, v1
	s_or_b32 vcc_lo, s0, vcc_lo
	v_cndmask_b32_e64 v17, v21, v17, s1
	v_cmp_ne_u32_e64 s1, v23, v22
	v_add_nc_u32_e32 v22, 0xfffffc10, v25
	v_add_co_ci_u32_e32 v12, vcc_lo, 0, v12, vcc_lo
	v_and_b32_e32 v23, 7, v17
	v_cndmask_b32_e64 v21, 0, 1, s1
	v_cmp_ne_u32_e32 vcc_lo, 0, v9
	v_cmp_gt_i32_e64 s0, 1, v22
	v_lshrrev_b32_e32 v17, 2, v17
	v_cmp_gt_i32_e64 s1, 31, v15
	v_or_b32_e32 v20, v20, v21
	v_lshl_or_b32 v21, v22, 12, v4
	v_cndmask_b32_e64 v9, 0, 1, vcc_lo
	v_cmp_lt_i32_e32 vcc_lo, 5, v23
	v_cndmask_b32_e64 v12, 0x7c00, v12, s1
	v_cmp_eq_u32_e64 s1, 0x40f, v15
	v_cndmask_b32_e64 v8, v21, v20, s0
	v_cmp_eq_u32_e64 s0, 3, v23
	v_lshl_or_b32 v9, v9, 9, 0x7c00
	v_and_b32_e32 v20, 7, v8
	s_or_b32 vcc_lo, s0, vcc_lo
	v_lshrrev_b32_e32 v8, 2, v8
	v_add_co_ci_u32_e32 v17, vcc_lo, 0, v17, vcc_lo
	v_cmp_ne_u32_e32 vcc_lo, 0, v6
	v_cmp_eq_u32_e64 s0, 3, v20
	v_cndmask_b32_e64 v9, v12, v9, s1
	v_cmp_gt_i32_e64 s1, 31, v19
	v_cndmask_b32_e64 v6, 0, 1, vcc_lo
	v_cmp_lt_i32_e32 vcc_lo, 5, v20
	v_and_or_b32 v9, 0x8000, v10, v9
	v_cndmask_b32_e64 v12, 0x7c00, v17, s1
	v_lshl_or_b32 v6, v6, 9, 0x7c00
	s_or_b32 vcc_lo, s0, vcc_lo
	v_lshl_or_b32 v1, v9, 16, v1
	v_add_co_ci_u32_e32 v8, vcc_lo, 0, v8, vcc_lo
	v_cmp_ne_u32_e32 vcc_lo, 0, v4
	v_cndmask_b32_e64 v4, 0, 1, vcc_lo
	v_cmp_eq_u32_e32 vcc_lo, 0x40f, v19
	v_lshl_or_b32 v4, v4, 9, 0x7c00
	v_cndmask_b32_e32 v6, v12, v6, vcc_lo
	v_cmp_gt_i32_e32 vcc_lo, 31, v22
	v_and_or_b32 v6, 0x8000, v7, v6
	v_cndmask_b32_e32 v8, 0x7c00, v8, vcc_lo
	v_cmp_eq_u32_e32 vcc_lo, 0x40f, v22
	v_and_b32_e32 v9, 0xffff, v6
	v_cndmask_b32_e32 v7, v8, v4, vcc_lo
	v_lshrrev_b32_e32 v8, 16, v5
	v_add_co_u32 v4, vcc_lo, v13, s5
	v_add_co_ci_u32_e32 v5, vcc_lo, s4, v14, vcc_lo
	v_and_or_b32 v8, 0x8000, v8, v7
	v_add_co_u32 v6, vcc_lo, v4, s3
	v_add_co_ci_u32_e32 v7, vcc_lo, s2, v5, vcc_lo
	v_lshl_or_b32 v10, v8, 16, v9
	v_add_co_u32 v8, vcc_lo, v6, s3
	v_add_co_ci_u32_e32 v9, vcc_lo, s2, v7, vcc_lo
	global_store_dword v[2:3], v0, off
	global_store_dword v[13:14], v16, off
	;; [unrolled: 1-line block ×5, first 2 shown]
.LBB0_2:
	s_endpgm
	.section	.rodata,"a",@progbits
	.p2align	6, 0x0
	.amdhsa_kernel bluestein_single_fwd_len3240_dim1_half_op_CI_CI
		.amdhsa_group_segment_fixed_size 12960
		.amdhsa_private_segment_fixed_size 32
		.amdhsa_kernarg_size 104
		.amdhsa_user_sgpr_count 6
		.amdhsa_user_sgpr_private_segment_buffer 1
		.amdhsa_user_sgpr_dispatch_ptr 0
		.amdhsa_user_sgpr_queue_ptr 0
		.amdhsa_user_sgpr_kernarg_segment_ptr 1
		.amdhsa_user_sgpr_dispatch_id 0
		.amdhsa_user_sgpr_flat_scratch_init 0
		.amdhsa_user_sgpr_private_segment_size 0
		.amdhsa_wavefront_size32 1
		.amdhsa_uses_dynamic_stack 0
		.amdhsa_system_sgpr_private_segment_wavefront_offset 1
		.amdhsa_system_sgpr_workgroup_id_x 1
		.amdhsa_system_sgpr_workgroup_id_y 0
		.amdhsa_system_sgpr_workgroup_id_z 0
		.amdhsa_system_sgpr_workgroup_info 0
		.amdhsa_system_vgpr_workitem_id 0
		.amdhsa_next_free_vgpr 256
		.amdhsa_next_free_sgpr 24
		.amdhsa_reserve_vcc 1
		.amdhsa_reserve_flat_scratch 0
		.amdhsa_float_round_mode_32 0
		.amdhsa_float_round_mode_16_64 0
		.amdhsa_float_denorm_mode_32 3
		.amdhsa_float_denorm_mode_16_64 3
		.amdhsa_dx10_clamp 1
		.amdhsa_ieee_mode 1
		.amdhsa_fp16_overflow 0
		.amdhsa_workgroup_processor_mode 1
		.amdhsa_memory_ordered 1
		.amdhsa_forward_progress 0
		.amdhsa_shared_vgpr_count 0
		.amdhsa_exception_fp_ieee_invalid_op 0
		.amdhsa_exception_fp_denorm_src 0
		.amdhsa_exception_fp_ieee_div_zero 0
		.amdhsa_exception_fp_ieee_overflow 0
		.amdhsa_exception_fp_ieee_underflow 0
		.amdhsa_exception_fp_ieee_inexact 0
		.amdhsa_exception_int_div_zero 0
	.end_amdhsa_kernel
	.text
.Lfunc_end0:
	.size	bluestein_single_fwd_len3240_dim1_half_op_CI_CI, .Lfunc_end0-bluestein_single_fwd_len3240_dim1_half_op_CI_CI
                                        ; -- End function
	.section	.AMDGPU.csdata,"",@progbits
; Kernel info:
; codeLenInByte = 48884
; NumSgprs: 26
; NumVgprs: 256
; ScratchSize: 32
; MemoryBound: 0
; FloatMode: 240
; IeeeMode: 1
; LDSByteSize: 12960 bytes/workgroup (compile time only)
; SGPRBlocks: 3
; VGPRBlocks: 31
; NumSGPRsForWavesPerEU: 26
; NumVGPRsForWavesPerEU: 256
; Occupancy: 4
; WaveLimiterHint : 1
; COMPUTE_PGM_RSRC2:SCRATCH_EN: 1
; COMPUTE_PGM_RSRC2:USER_SGPR: 6
; COMPUTE_PGM_RSRC2:TRAP_HANDLER: 0
; COMPUTE_PGM_RSRC2:TGID_X_EN: 1
; COMPUTE_PGM_RSRC2:TGID_Y_EN: 0
; COMPUTE_PGM_RSRC2:TGID_Z_EN: 0
; COMPUTE_PGM_RSRC2:TIDIG_COMP_CNT: 0
	.text
	.p2alignl 6, 3214868480
	.fill 48, 4, 3214868480
	.type	__hip_cuid_699278e12a433033,@object ; @__hip_cuid_699278e12a433033
	.section	.bss,"aw",@nobits
	.globl	__hip_cuid_699278e12a433033
__hip_cuid_699278e12a433033:
	.byte	0                               ; 0x0
	.size	__hip_cuid_699278e12a433033, 1

	.ident	"AMD clang version 19.0.0git (https://github.com/RadeonOpenCompute/llvm-project roc-6.4.0 25133 c7fe45cf4b819c5991fe208aaa96edf142730f1d)"
	.section	".note.GNU-stack","",@progbits
	.addrsig
	.addrsig_sym __hip_cuid_699278e12a433033
	.amdgpu_metadata
---
amdhsa.kernels:
  - .args:
      - .actual_access:  read_only
        .address_space:  global
        .offset:         0
        .size:           8
        .value_kind:     global_buffer
      - .actual_access:  read_only
        .address_space:  global
        .offset:         8
        .size:           8
        .value_kind:     global_buffer
      - .actual_access:  read_only
        .address_space:  global
        .offset:         16
        .size:           8
        .value_kind:     global_buffer
      - .actual_access:  read_only
        .address_space:  global
        .offset:         24
        .size:           8
        .value_kind:     global_buffer
      - .actual_access:  read_only
        .address_space:  global
        .offset:         32
        .size:           8
        .value_kind:     global_buffer
      - .offset:         40
        .size:           8
        .value_kind:     by_value
      - .address_space:  global
        .offset:         48
        .size:           8
        .value_kind:     global_buffer
      - .address_space:  global
        .offset:         56
        .size:           8
        .value_kind:     global_buffer
      - .address_space:  global
        .offset:         64
        .size:           8
        .value_kind:     global_buffer
      - .address_space:  global
        .offset:         72
        .size:           8
        .value_kind:     global_buffer
      - .offset:         80
        .size:           4
        .value_kind:     by_value
      - .address_space:  global
        .offset:         88
        .size:           8
        .value_kind:     global_buffer
      - .address_space:  global
        .offset:         96
        .size:           8
        .value_kind:     global_buffer
    .group_segment_fixed_size: 12960
    .kernarg_segment_align: 8
    .kernarg_segment_size: 104
    .language:       OpenCL C
    .language_version:
      - 2
      - 0
    .max_flat_workgroup_size: 108
    .name:           bluestein_single_fwd_len3240_dim1_half_op_CI_CI
    .private_segment_fixed_size: 32
    .sgpr_count:     26
    .sgpr_spill_count: 0
    .symbol:         bluestein_single_fwd_len3240_dim1_half_op_CI_CI.kd
    .uniform_work_group_size: 1
    .uses_dynamic_stack: false
    .vgpr_count:     256
    .vgpr_spill_count: 7
    .wavefront_size: 32
    .workgroup_processor_mode: 1
amdhsa.target:   amdgcn-amd-amdhsa--gfx1030
amdhsa.version:
  - 1
  - 2
...

	.end_amdgpu_metadata
